;; amdgpu-corpus repo=ROCm/rocFFT kind=compiled arch=gfx1030 opt=O3
	.text
	.amdgcn_target "amdgcn-amd-amdhsa--gfx1030"
	.amdhsa_code_object_version 6
	.protected	bluestein_single_back_len1638_dim1_sp_op_CI_CI ; -- Begin function bluestein_single_back_len1638_dim1_sp_op_CI_CI
	.globl	bluestein_single_back_len1638_dim1_sp_op_CI_CI
	.p2align	8
	.type	bluestein_single_back_len1638_dim1_sp_op_CI_CI,@function
bluestein_single_back_len1638_dim1_sp_op_CI_CI: ; @bluestein_single_back_len1638_dim1_sp_op_CI_CI
; %bb.0:
	s_load_dwordx4 s[0:3], s[4:5], 0x28
	v_mul_u32_u24_e32 v1, 0x169, v0
	v_mov_b32_e32 v79, 0
	v_lshrrev_b32_e32 v1, 16, v1
	v_add_nc_u32_e32 v78, s6, v1
	s_waitcnt lgkmcnt(0)
	v_cmp_gt_u64_e32 vcc_lo, s[0:1], v[78:79]
	s_and_saveexec_b32 s0, vcc_lo
	s_cbranch_execz .LBB0_31
; %bb.1:
	s_clause 0x1
	s_load_dwordx2 s[14:15], s[4:5], 0x0
	s_load_dwordx2 s[12:13], s[4:5], 0x38
	v_mul_lo_u16 v1, 0xb6, v1
	v_sub_nc_u16 v0, v0, v1
	v_and_b32_e32 v102, 0xffff, v0
	v_cmp_gt_u16_e32 vcc_lo, 0x7e, v0
	v_lshlrev_b32_e32 v101, 3, v102
	s_and_saveexec_b32 s1, vcc_lo
	s_cbranch_execz .LBB0_3
; %bb.2:
	s_load_dwordx2 s[6:7], s[4:5], 0x18
	s_waitcnt lgkmcnt(0)
	v_add_co_u32 v21, s0, s14, v101
	v_add_co_ci_u32_e64 v22, null, s15, 0, s0
	v_add_nc_u32_e32 v54, 0x400, v101
	v_add_co_u32 v8, s0, 0x800, v21
	v_add_co_ci_u32_e64 v9, s0, 0, v22, s0
	v_add_co_u32 v10, s0, 0x1000, v21
	v_add_co_ci_u32_e64 v11, s0, 0, v22, s0
	;; [unrolled: 2-line block ×3, first 2 shown]
	v_add_nc_u32_e32 v55, 0xc00, v101
	v_add_nc_u32_e32 v56, 0x1400, v101
	s_load_dwordx4 s[8:11], s[6:7], 0x0
	s_clause 0x2
	global_load_dwordx2 v[0:1], v101, s[14:15]
	global_load_dwordx2 v[2:3], v101, s[14:15] offset:1008
	global_load_dwordx2 v[4:5], v101, s[14:15] offset:2016
	v_add_nc_u32_e32 v57, 0x1c00, v101
	v_add_nc_u32_e32 v58, 0x2400, v101
	s_waitcnt lgkmcnt(0)
	v_mad_u64_u32 v[6:7], null, s10, v78, 0
	v_mad_u64_u32 v[12:13], null, s8, v102, 0
	s_mul_i32 s6, s9, 0x3f0
	s_mul_hi_u32 s7, s8, 0x3f0
	s_add_i32 s7, s7, s6
	v_mad_u64_u32 v[16:17], null, s11, v78, v[7:8]
	v_mov_b32_e32 v7, v13
	v_add_co_u32 v17, s0, 0x2000, v21
	v_add_co_ci_u32_e64 v18, s0, 0, v22, s0
	v_mad_u64_u32 v[19:20], null, s9, v102, v[7:8]
	v_mov_b32_e32 v7, v16
	v_add_co_u32 v20, s0, 0x2800, v21
	v_add_co_ci_u32_e64 v21, s0, 0, v22, s0
	v_lshlrev_b64 v[6:7], 3, v[6:7]
	v_mov_b32_e32 v13, v19
	s_clause 0x7
	global_load_dwordx2 v[22:23], v[8:9], off offset:976
	global_load_dwordx2 v[8:9], v[8:9], off offset:1984
	;; [unrolled: 1-line block ×8, first 2 shown]
	v_lshlrev_b64 v[12:13], 3, v[12:13]
	v_add_co_u32 v6, s0, s2, v6
	v_add_co_ci_u32_e64 v7, s0, s3, v7, s0
	s_mul_i32 s2, s8, 0x3f0
	v_add_co_u32 v6, s0, v6, v12
	v_add_co_ci_u32_e64 v7, s0, v7, v13, s0
	v_add_co_u32 v12, s0, v6, s2
	v_add_co_ci_u32_e64 v13, s0, s7, v7, s0
	global_load_dwordx2 v[6:7], v[6:7], off
	v_add_co_u32 v28, s0, v12, s2
	v_add_co_ci_u32_e64 v29, s0, s7, v13, s0
	v_add_co_u32 v18, s0, v28, s2
	v_add_co_ci_u32_e64 v19, s0, s7, v29, s0
	;; [unrolled: 2-line block ×3, first 2 shown]
	s_clause 0x2
	global_load_dwordx2 v[12:13], v[12:13], off
	global_load_dwordx2 v[28:29], v[28:29], off
	global_load_dwordx2 v[18:19], v[18:19], off
	v_add_co_u32 v34, s0, v32, s2
	v_add_co_ci_u32_e64 v35, s0, s7, v33, s0
	global_load_dwordx2 v[32:33], v[32:33], off
	v_add_co_u32 v36, s0, v34, s2
	v_add_co_ci_u32_e64 v37, s0, s7, v35, s0
	global_load_dwordx2 v[34:35], v[34:35], off
	v_add_co_u32 v38, s0, v36, s2
	v_add_co_ci_u32_e64 v39, s0, s7, v37, s0
	global_load_dwordx2 v[36:37], v[36:37], off
	v_add_co_u32 v40, s0, v38, s2
	v_add_co_ci_u32_e64 v41, s0, s7, v39, s0
	global_load_dwordx2 v[38:39], v[38:39], off
	v_add_co_u32 v42, s0, v40, s2
	v_add_co_ci_u32_e64 v43, s0, s7, v41, s0
	global_load_dwordx2 v[40:41], v[40:41], off
	v_add_co_u32 v44, s0, v42, s2
	v_add_co_ci_u32_e64 v45, s0, s7, v43, s0
	global_load_dwordx2 v[42:43], v[42:43], off
	v_add_co_u32 v46, s0, v44, s2
	v_add_co_ci_u32_e64 v47, s0, s7, v45, s0
	global_load_dwordx2 v[44:45], v[44:45], off
	v_add_co_u32 v48, s0, v46, s2
	v_add_co_ci_u32_e64 v49, s0, s7, v47, s0
	global_load_dwordx2 v[46:47], v[46:47], off
	s_clause 0x1
	global_load_dwordx2 v[50:51], v[20:21], off offset:848
	global_load_dwordx2 v[20:21], v[20:21], off offset:1856
	global_load_dwordx2 v[48:49], v[48:49], off
	s_waitcnt vmcnt(14)
	v_mul_f32_e32 v52, v7, v1
	v_mul_f32_e32 v53, v6, v1
	v_fmac_f32_e32 v52, v6, v0
	v_fma_f32 v53, v7, v0, -v53
	s_waitcnt vmcnt(13)
	v_mul_f32_e32 v1, v13, v3
	v_mul_f32_e32 v0, v12, v3
	s_waitcnt vmcnt(12)
	v_mul_f32_e32 v6, v28, v5
	v_mul_f32_e32 v5, v29, v5
	;; [unrolled: 3-line block ×3, first 2 shown]
	v_fmac_f32_e32 v1, v12, v2
	v_fma_f32 v2, v13, v2, -v0
	v_fma_f32 v6, v29, v4, -v6
	v_fmac_f32_e32 v5, v28, v4
	v_fmac_f32_e32 v3, v18, v22
	v_fma_f32 v4, v19, v22, -v7
	s_waitcnt vmcnt(10)
	v_mul_f32_e32 v0, v33, v9
	v_mul_f32_e32 v7, v32, v9
	ds_write2_b64 v101, v[52:53], v[1:2] offset1:126
	s_waitcnt vmcnt(9)
	v_mul_f32_e32 v2, v35, v25
	ds_write2_b64 v54, v[5:6], v[3:4] offset0:124 offset1:250
	s_waitcnt vmcnt(8)
	v_mul_f32_e32 v4, v37, v11
	v_mul_f32_e32 v5, v36, v11
	v_fmac_f32_e32 v0, v32, v8
	v_fma_f32 v1, v33, v8, -v7
	v_mul_f32_e32 v3, v34, v25
	s_waitcnt vmcnt(7)
	v_mul_f32_e32 v6, v39, v27
	v_mul_f32_e32 v7, v38, v27
	v_fmac_f32_e32 v4, v36, v10
	v_fma_f32 v5, v37, v10, -v5
	v_fmac_f32_e32 v2, v34, v24
	s_waitcnt vmcnt(6)
	v_mul_f32_e32 v8, v41, v15
	v_mul_f32_e32 v9, v40, v15
	v_fma_f32 v3, v35, v24, -v3
	v_fmac_f32_e32 v6, v38, v26
	v_fma_f32 v7, v39, v26, -v7
	s_waitcnt vmcnt(5)
	v_mul_f32_e32 v10, v43, v31
	v_mul_f32_e32 v11, v42, v31
	v_fmac_f32_e32 v8, v40, v14
	v_fma_f32 v9, v41, v14, -v9
	s_waitcnt vmcnt(4)
	v_mul_f32_e32 v12, v45, v17
	v_mul_f32_e32 v13, v44, v17
	v_fmac_f32_e32 v10, v42, v30
	s_waitcnt vmcnt(2)
	v_mul_f32_e32 v14, v47, v51
	v_mul_f32_e32 v15, v46, v51
	s_waitcnt vmcnt(0)
	v_mul_f32_e32 v17, v49, v21
	v_mul_f32_e32 v18, v48, v21
	v_fma_f32 v11, v43, v30, -v11
	v_fmac_f32_e32 v12, v44, v16
	v_fma_f32 v13, v45, v16, -v13
	v_fmac_f32_e32 v14, v46, v50
	;; [unrolled: 2-line block ×3, first 2 shown]
	v_fma_f32 v18, v49, v20, -v18
	ds_write2_b64 v55, v[0:1], v[2:3] offset0:120 offset1:246
	ds_write2_b64 v56, v[4:5], v[6:7] offset0:116 offset1:242
	;; [unrolled: 1-line block ×4, first 2 shown]
	ds_write_b64 v101, v[17:18] offset:12096
.LBB0_3:
	s_or_b32 exec_lo, exec_lo, s1
	v_mov_b32_e32 v0, 0
	v_mov_b32_e32 v1, 0
                                        ; kill: def $vgpr2 killed $sgpr0 killed $exec
	s_waitcnt lgkmcnt(0)
	s_barrier
	buffer_gl0_inv
                                        ; implicit-def: $vgpr4
                                        ; implicit-def: $vgpr24
                                        ; implicit-def: $vgpr10
                                        ; implicit-def: $vgpr14
                                        ; implicit-def: $vgpr18
                                        ; implicit-def: $vgpr22
	s_and_saveexec_b32 s0, vcc_lo
	s_cbranch_execz .LBB0_5
; %bb.4:
	v_add_nc_u32_e32 v4, 0x400, v101
	v_add_nc_u32_e32 v5, 0xc00, v101
	;; [unrolled: 1-line block ×5, first 2 shown]
	ds_read2_b64 v[0:3], v101 offset1:126
	ds_read2_b64 v[20:23], v4 offset0:124 offset1:250
	ds_read2_b64 v[16:19], v5 offset0:120 offset1:246
	;; [unrolled: 1-line block ×5, first 2 shown]
	ds_read_b64 v[24:25], v101 offset:12096
.LBB0_5:
	s_or_b32 exec_lo, exec_lo, s0
	s_waitcnt lgkmcnt(0)
	v_sub_f32_e32 v74, v3, v25
	v_sub_f32_e32 v63, v2, v24
	v_add_f32_e32 v45, v24, v2
	v_add_f32_e32 v46, v25, v3
	v_sub_f32_e32 v81, v21, v7
	v_mul_f32_e32 v30, 0xbeedf032, v74
	v_mul_f32_e32 v31, 0xbeedf032, v63
	v_sub_f32_e32 v71, v20, v6
	v_add_f32_e32 v44, v6, v20
	v_add_f32_e32 v47, v7, v21
	v_fmamk_f32 v26, v45, 0x3f62ad3f, v30
	v_fma_f32 v27, 0x3f62ad3f, v46, -v31
	v_mul_f32_e32 v32, 0xbf52af12, v81
	v_mul_f32_e32 v33, 0xbf52af12, v71
	v_sub_f32_e32 v85, v23, v5
	v_sub_f32_e32 v75, v22, v4
	v_add_f32_e32 v26, v26, v0
	v_add_f32_e32 v27, v27, v1
	v_fmamk_f32 v28, v44, 0x3f116cb1, v32
	v_fma_f32 v29, 0x3f116cb1, v47, -v33
	v_add_f32_e32 v48, v4, v22
	v_mul_f32_e32 v34, 0xbf7e222b, v85
	v_add_f32_e32 v49, v5, v23
	v_mul_f32_e32 v35, 0xbf7e222b, v75
	v_sub_f32_e32 v92, v17, v11
	v_sub_f32_e32 v83, v16, v10
	v_add_f32_e32 v26, v28, v26
	v_add_f32_e32 v27, v29, v27
	v_fmamk_f32 v28, v48, 0x3df6dbef, v34
	v_fma_f32 v29, 0x3df6dbef, v49, -v35
	v_add_f32_e32 v51, v10, v16
	v_add_f32_e32 v52, v11, v17
	v_mul_f32_e32 v38, 0xbf6f5d39, v92
	v_mul_f32_e32 v39, 0xbf6f5d39, v83
	v_sub_f32_e32 v94, v19, v9
	v_sub_f32_e32 v91, v18, v8
	v_add_f32_e32 v26, v28, v26
	v_add_f32_e32 v27, v29, v27
	v_fmamk_f32 v28, v51, 0xbeb58ec6, v38
	v_fma_f32 v29, 0xbeb58ec6, v52, -v39
	v_add_f32_e32 v56, v8, v18
	v_mul_f32_e32 v40, 0xbf29c268, v94
	v_add_f32_e32 v65, v9, v19
	v_mul_f32_e32 v41, 0xbf29c268, v91
	v_add_f32_e32 v26, v28, v26
	v_add_f32_e32 v27, v29, v27
	v_fmamk_f32 v28, v56, 0xbf3f9e67, v40
	v_mul_f32_e32 v54, 0xbf52af12, v74
	v_fma_f32 v29, 0xbf3f9e67, v65, -v41
	v_mul_f32_e32 v66, 0xbf52af12, v63
	v_mul_f32_e32 v55, 0xbf6f5d39, v81
	v_add_f32_e32 v26, v28, v26
	v_fmamk_f32 v28, v45, 0x3f116cb1, v54
	v_add_f32_e32 v27, v29, v27
	v_fma_f32 v29, 0x3f116cb1, v46, -v66
	v_mul_f32_e32 v67, 0xbf6f5d39, v71
	v_sub_f32_e32 v97, v13, v15
	v_add_f32_e32 v28, v28, v0
	v_fmamk_f32 v36, v44, 0xbeb58ec6, v55
	v_add_f32_e32 v29, v29, v1
	v_fma_f32 v37, 0xbeb58ec6, v47, -v67
	v_mul_f32_e32 v57, 0xbe750f2a, v85
	v_mul_f32_e32 v64, 0xbe750f2a, v75
	v_sub_f32_e32 v93, v12, v14
	v_add_f32_e32 v72, v14, v12
	v_mul_f32_e32 v42, 0xbe750f2a, v97
	v_add_f32_e32 v28, v36, v28
	v_add_f32_e32 v29, v37, v29
	v_fmamk_f32 v36, v48, 0xbf788fa5, v57
	v_fma_f32 v37, 0xbf788fa5, v49, -v64
	v_mul_f32_e32 v62, 0x3f29c268, v92
	v_mul_f32_e32 v68, 0x3f29c268, v83
	v_add_f32_e32 v73, v15, v13
	v_mul_f32_e32 v43, 0xbe750f2a, v93
	v_fmamk_f32 v53, v72, 0xbf788fa5, v42
	v_add_f32_e32 v28, v36, v28
	v_add_f32_e32 v29, v37, v29
	v_fmamk_f32 v37, v51, 0xbf3f9e67, v62
	v_mul_f32_e32 v50, 0x3f7e222b, v94
	v_fma_f32 v59, 0xbf3f9e67, v52, -v68
	v_mul_f32_e32 v69, 0x3f7e222b, v91
	v_fma_f32 v58, 0xbf788fa5, v73, -v43
	v_add_f32_e32 v36, v53, v26
	v_add_f32_e32 v26, v37, v28
	v_fmamk_f32 v28, v56, 0x3df6dbef, v50
	v_add_f32_e32 v29, v59, v29
	v_fma_f32 v53, 0x3df6dbef, v65, -v69
	v_mul_f32_e32 v79, 0xbf7e222b, v74
	v_mul_f32_e32 v86, 0xbf7e222b, v63
	v_add_f32_e32 v37, v58, v27
	v_add_f32_e32 v26, v28, v26
	;; [unrolled: 1-line block ×3, first 2 shown]
	v_mul_f32_e32 v53, 0x3eedf032, v97
	v_fmamk_f32 v28, v45, 0x3df6dbef, v79
	v_mul_f32_e32 v82, 0xbe750f2a, v81
	v_fma_f32 v29, 0x3df6dbef, v46, -v86
	v_mul_f32_e32 v87, 0xbe750f2a, v71
	v_fmamk_f32 v58, v72, 0x3f62ad3f, v53
	v_add_f32_e32 v28, v28, v0
	v_fmamk_f32 v59, v44, 0xbf788fa5, v82
	v_add_f32_e32 v29, v29, v1
	v_fma_f32 v60, 0xbf788fa5, v47, -v87
	v_mul_f32_e32 v80, 0x3f6f5d39, v85
	v_mul_f32_e32 v88, 0x3f6f5d39, v75
	v_add_f32_e32 v58, v58, v26
	v_add_f32_e32 v26, v59, v28
	;; [unrolled: 1-line block ×3, first 2 shown]
	v_fmamk_f32 v29, v48, 0xbeb58ec6, v80
	v_fma_f32 v59, 0xbeb58ec6, v49, -v88
	v_mul_f32_e32 v76, 0x3eedf032, v92
	v_mul_f32_e32 v90, 0x3eedf032, v83
	;; [unrolled: 1-line block ×3, first 2 shown]
	v_add_f32_e32 v26, v29, v26
	v_add_f32_e32 v28, v59, v28
	v_fmamk_f32 v29, v51, 0x3f62ad3f, v76
	v_fma_f32 v59, 0x3f62ad3f, v52, -v90
	v_mul_f32_e32 v77, 0xbf52af12, v94
	v_mul_f32_e32 v89, 0xbf52af12, v91
	v_fma_f32 v60, 0x3f62ad3f, v73, -v70
	v_add_f32_e32 v26, v29, v26
	v_add_f32_e32 v28, v59, v28
	v_fmamk_f32 v29, v56, 0x3f116cb1, v77
	v_fma_f32 v61, 0x3f116cb1, v65, -v89
	v_mul_f32_e32 v98, 0xbf6f5d39, v74
	v_mul_f32_e32 v107, 0xbf6f5d39, v63
	v_add_f32_e32 v59, v60, v27
	v_add_f32_e32 v26, v29, v26
	;; [unrolled: 1-line block ×3, first 2 shown]
	v_fmamk_f32 v28, v45, 0xbeb58ec6, v98
	v_mul_f32_e32 v104, 0x3f29c268, v81
	v_fma_f32 v29, 0xbeb58ec6, v46, -v107
	v_mul_f32_e32 v109, 0x3f29c268, v71
	v_mul_f32_e32 v84, 0xbf29c268, v97
	v_add_f32_e32 v28, v28, v0
	v_fmamk_f32 v60, v44, 0xbf3f9e67, v104
	v_add_f32_e32 v29, v29, v1
	v_fma_f32 v61, 0xbf3f9e67, v47, -v109
	v_mul_f32_e32 v100, 0x3eedf032, v85
	v_mul_f32_e32 v110, 0x3eedf032, v75
	v_fmamk_f32 v95, v72, 0xbf3f9e67, v84
	v_add_f32_e32 v28, v60, v28
	v_add_f32_e32 v29, v61, v29
	v_fmamk_f32 v61, v48, 0x3f62ad3f, v100
	v_fma_f32 v96, 0x3f62ad3f, v49, -v110
	v_mul_f32_e32 v105, 0xbf7e222b, v92
	v_mul_f32_e32 v106, 0xbf7e222b, v83
	v_add_f32_e32 v60, v95, v26
	v_add_f32_e32 v26, v61, v28
	;; [unrolled: 1-line block ×3, first 2 shown]
	v_fmamk_f32 v29, v51, 0x3df6dbef, v105
	v_mul_f32_e32 v96, 0x3e750f2a, v94
	v_fma_f32 v61, 0x3df6dbef, v52, -v106
	v_mul_f32_e32 v108, 0x3e750f2a, v91
	v_mul_f32_e32 v114, 0xbf29c268, v74
	v_add_f32_e32 v26, v29, v26
	v_fmamk_f32 v29, v56, 0xbf788fa5, v96
	v_add_f32_e32 v28, v61, v28
	v_fma_f32 v61, 0xbf788fa5, v65, -v108
	v_mul_f32_e32 v119, 0xbf29c268, v63
	v_mul_f32_e32 v116, 0x3f7e222b, v81
	v_add_f32_e32 v26, v29, v26
	v_mul_f32_e32 v121, 0x3f7e222b, v71
	v_add_f32_e32 v29, v61, v28
	v_fmamk_f32 v28, v45, 0xbf3f9e67, v114
	v_fma_f32 v61, 0xbf3f9e67, v46, -v119
	v_fmamk_f32 v111, v44, 0x3df6dbef, v116
	v_mul_f32_e32 v117, 0xbf52af12, v85
	v_fma_f32 v112, 0x3df6dbef, v47, -v121
	v_add_f32_e32 v28, v28, v0
	v_add_f32_e32 v61, v61, v1
	v_mul_f32_e32 v122, 0xbf52af12, v75
	v_mul_f32_e32 v113, 0x3e750f2a, v92
	;; [unrolled: 1-line block ×3, first 2 shown]
	v_add_f32_e32 v28, v111, v28
	v_fmamk_f32 v111, v48, 0x3f116cb1, v117
	v_add_f32_e32 v61, v112, v61
	v_fma_f32 v112, 0x3f116cb1, v49, -v122
	v_fmamk_f32 v115, v51, 0xbf788fa5, v113
	v_mul_f32_e32 v120, 0x3eedf032, v91
	v_add_f32_e32 v28, v111, v28
	s_clause 0x1
	s_load_dwordx2 s[2:3], s[4:5], 0x20
	s_load_dwordx2 s[8:9], s[4:5], 0x8
	v_add_f32_e32 v61, v112, v61
	v_fma_f32 v112, 0xbf788fa5, v52, -v118
	v_mul_f32_e32 v95, 0xbf29c268, v93
	v_add_f32_e32 v28, v115, v28
	v_mul_f32_e32 v115, 0x3eedf032, v94
	v_mul_f32_e32 v99, 0x3f52af12, v97
	v_mul_f32_e32 v111, 0x3f52af12, v93
	v_add_f32_e32 v61, v112, v61
	v_fma_f32 v126, 0x3f62ad3f, v65, -v120
	v_fmamk_f32 v125, v56, 0x3f62ad3f, v115
	v_mul_f32_e32 v112, 0xbf6f5d39, v97
	v_mul_f32_e32 v123, 0xbf6f5d39, v93
	v_fma_f32 v103, 0xbf3f9e67, v73, -v95
	v_fmamk_f32 v124, v72, 0x3f116cb1, v99
	v_fma_f32 v127, 0x3f116cb1, v73, -v111
	v_add_f32_e32 v125, v125, v28
	v_add_f32_e32 v126, v126, v61
	v_fmamk_f32 v128, v72, 0xbeb58ec6, v112
	v_fma_f32 v129, 0xbeb58ec6, v73, -v123
	v_add_f32_e32 v61, v103, v27
	v_add_f32_e32 v28, v124, v26
	;; [unrolled: 1-line block ×5, first 2 shown]
	v_mul_lo_u16 v103, v102, 13
	s_waitcnt lgkmcnt(0)
	s_barrier
	buffer_gl0_inv
	s_and_saveexec_b32 s0, vcc_lo
	s_cbranch_execz .LBB0_7
; %bb.6:
	v_mul_f32_e32 v124, 0xbf788fa5, v46
	v_mul_f32_e32 v125, 0x3f62ad3f, v47
	;; [unrolled: 1-line block ×5, first 2 shown]
	v_fmamk_f32 v127, v63, 0x3e750f2a, v124
	v_fmamk_f32 v129, v71, 0xbeedf032, v125
	;; [unrolled: 1-line block ×3, first 2 shown]
	v_mul_f32_e32 v85, 0xbf29c268, v85
	v_mul_f32_e32 v128, 0x3f116cb1, v52
	v_add_f32_e32 v127, v127, v1
	v_fmamk_f32 v131, v44, 0x3f62ad3f, v81
	v_fmamk_f32 v132, v75, 0x3f29c268, v126
	v_add_f32_e32 v130, v130, v0
	v_mul_f32_e32 v92, 0x3f52af12, v92
	v_add_f32_e32 v127, v129, v127
	v_mul_f32_e32 v129, 0xbeb58ec6, v65
	v_fmamk_f32 v133, v48, 0xbf3f9e67, v85
	v_fmamk_f32 v134, v83, 0xbf52af12, v128
	v_add_f32_e32 v130, v131, v130
	v_add_f32_e32 v127, v132, v127
	v_fmac_f32_e32 v124, 0xbe750f2a, v63
	v_fmamk_f32 v131, v51, 0x3f116cb1, v92
	v_fmamk_f32 v132, v91, 0x3f6f5d39, v129
	v_add_f32_e32 v63, v133, v130
	v_add_f32_e32 v127, v134, v127
	v_mul_f32_e32 v94, 0xbf6f5d39, v94
	v_fmac_f32_e32 v125, 0x3eedf032, v71
	v_add_f32_e32 v71, v124, v1
	v_add_f32_e32 v63, v131, v63
	;; [unrolled: 1-line block ×3, first 2 shown]
	v_fmamk_f32 v127, v56, 0xbeb58ec6, v94
	v_mul_f32_e32 v97, 0x3f7e222b, v97
	v_add_f32_e32 v71, v125, v71
	v_fmac_f32_e32 v126, 0xbf29c268, v75
	v_fma_f32 v74, 0xbf788fa5, v45, -v74
	v_add_f32_e32 v63, v127, v63
	v_fmamk_f32 v125, v72, 0x3df6dbef, v97
	v_fmac_f32_e32 v128, 0x3f52af12, v83
	v_add_f32_e32 v71, v126, v71
	v_add_f32_e32 v83, v74, v0
	v_fma_f32 v81, 0x3f62ad3f, v44, -v81
	v_add_f32_e32 v74, v125, v63
	v_mul_f32_e32 v130, 0x3df6dbef, v73
	v_add_f32_e32 v63, v128, v71
	v_fmac_f32_e32 v129, 0xbf6f5d39, v91
	v_add_f32_e32 v71, v81, v83
	v_fma_f32 v81, 0xbf3f9e67, v48, -v85
	v_mul_f32_e32 v85, 0xbf3f9e67, v46
	v_mul_f32_e32 v91, 0x3df6dbef, v47
	v_fma_f32 v92, 0x3f116cb1, v51, -v92
	v_fmamk_f32 v75, v93, 0xbf7e222b, v130
	v_add_f32_e32 v71, v81, v71
	v_add_f32_e32 v85, v119, v85
	;; [unrolled: 1-line block ×3, first 2 shown]
	v_fmac_f32_e32 v130, 0x3f7e222b, v93
	v_mul_f32_e32 v93, 0x3f116cb1, v49
	v_add_f32_e32 v71, v92, v71
	v_add_f32_e32 v85, v85, v1
	v_fma_f32 v94, 0xbeb58ec6, v56, -v94
	v_mul_f32_e32 v83, 0x3f62ad3f, v45
	v_mul_f32_e32 v119, 0x3f116cb1, v45
	v_mul_f32_e32 v92, 0x3df6dbef, v45
	v_add_f32_e32 v85, v91, v85
	v_add_f32_e32 v93, v122, v93
	v_mul_f32_e32 v122, 0xbeb58ec6, v45
	v_mul_f32_e32 v45, 0xbf3f9e67, v45
	v_add_f32_e32 v71, v94, v71
	v_mul_f32_e32 v94, 0xbf788fa5, v52
	v_add_f32_e32 v85, v93, v85
	v_mul_f32_e32 v93, 0x3df6dbef, v44
	v_sub_f32_e32 v45, v45, v114
	v_mul_f32_e32 v81, 0x3f62ad3f, v46
	v_add_f32_e32 v94, v118, v94
	v_mul_f32_e32 v118, 0x3f62ad3f, v65
	v_sub_f32_e32 v93, v93, v116
	v_add_f32_e32 v45, v45, v0
	v_mul_f32_e32 v121, 0x3f116cb1, v46
	v_add_f32_e32 v85, v94, v85
	v_mul_f32_e32 v94, 0x3f116cb1, v48
	v_add_f32_e32 v118, v120, v118
	v_add_f32_e32 v45, v93, v45
	v_mul_f32_e32 v91, 0x3df6dbef, v46
	v_mul_f32_e32 v46, 0xbeb58ec6, v46
	v_sub_f32_e32 v94, v94, v117
	v_mul_f32_e32 v114, 0x3f116cb1, v44
	v_mul_f32_e32 v120, 0xbeb58ec6, v44
	v_mul_f32_e32 v93, 0xbeb58ec6, v73
	v_add_f32_e32 v85, v118, v85
	v_add_f32_e32 v45, v94, v45
	v_mul_f32_e32 v94, 0xbf788fa5, v51
	v_mul_f32_e32 v118, 0xbf788fa5, v44
	;; [unrolled: 1-line block ×3, first 2 shown]
	v_sub_f32_e32 v98, v122, v98
	v_mul_f32_e32 v116, 0x3f116cb1, v47
	v_sub_f32_e32 v94, v94, v113
	v_mul_f32_e32 v113, 0x3f62ad3f, v56
	v_mul_f32_e32 v117, 0xbeb58ec6, v47
	v_add_f32_e32 v93, v123, v93
	v_mul_f32_e32 v123, 0xbf788fa5, v47
	v_add_f32_e32 v45, v94, v45
	v_mul_f32_e32 v94, 0x3f62ad3f, v49
	v_mul_f32_e32 v47, 0xbf3f9e67, v47
	v_add_f32_e32 v46, v107, v46
	v_mul_f32_e32 v107, 0x3df6dbef, v48
	v_sub_f32_e32 v113, v113, v115
	v_mul_f32_e32 v115, 0xbf788fa5, v48
	v_add_f32_e32 v94, v110, v94
	v_mul_f32_e32 v110, 0xbeb58ec6, v48
	v_mul_f32_e32 v48, 0x3f62ad3f, v48
	v_sub_f32_e32 v44, v44, v104
	v_add_f32_e32 v98, v98, v0
	v_add_f32_e32 v47, v109, v47
	;; [unrolled: 1-line block ×3, first 2 shown]
	v_sub_f32_e32 v48, v48, v100
	v_add_f32_e32 v45, v113, v45
	v_add_f32_e32 v44, v44, v98
	v_mul_f32_e32 v113, 0x3df6dbef, v52
	v_add_f32_e32 v46, v47, v46
	v_mul_f32_e32 v109, 0x3df6dbef, v49
	v_mul_f32_e32 v47, 0xbf788fa5, v49
	v_add_f32_e32 v44, v48, v44
	v_add_f32_e32 v48, v86, v91
	v_mul_f32_e32 v49, 0xbeb58ec6, v49
	v_add_f32_e32 v46, v94, v46
	v_add_f32_e32 v106, v106, v113
	v_mul_f32_e32 v113, 0xbf788fa5, v65
	v_add_f32_e32 v86, v87, v123
	v_add_f32_e32 v48, v48, v1
	v_add_f32_e32 v3, v3, v1
	v_add_f32_e32 v2, v2, v0
	v_mul_f32_e32 v94, 0xbeb58ec6, v51
	v_mul_f32_e32 v122, 0xbeb58ec6, v52
	;; [unrolled: 1-line block ×3, first 2 shown]
	v_add_f32_e32 v46, v106, v46
	v_mul_f32_e32 v106, 0xbf3f9e67, v52
	v_add_f32_e32 v108, v108, v113
	v_mul_f32_e32 v113, 0x3f62ad3f, v51
	v_mul_f32_e32 v52, 0x3f62ad3f, v52
	;; [unrolled: 1-line block ×3, first 2 shown]
	v_add_f32_e32 v48, v86, v48
	v_add_f32_e32 v49, v88, v49
	;; [unrolled: 1-line block ×4, first 2 shown]
	v_mul_f32_e32 v98, 0xbeb58ec6, v72
	v_add_f32_e32 v108, v108, v46
	v_sub_f32_e32 v46, v51, v105
	v_mul_f32_e32 v51, 0x3f116cb1, v65
	v_add_f32_e32 v49, v49, v48
	v_add_f32_e32 v52, v90, v52
	;; [unrolled: 1-line block ×4, first 2 shown]
	v_sub_f32_e32 v98, v98, v112
	v_mul_f32_e32 v112, 0xbf3f9e67, v65
	v_mul_f32_e32 v125, 0x3df6dbef, v65
	;; [unrolled: 1-line block ×6, first 2 shown]
	v_add_f32_e32 v49, v52, v49
	v_add_f32_e32 v51, v89, v51
	;; [unrolled: 1-line block ×12, first 2 shown]
	v_sub_f32_e32 v63, v92, v79
	v_add_f32_e32 v66, v66, v121
	v_add_f32_e32 v51, v51, v49
	v_sub_f32_e32 v49, v119, v54
	v_add_f32_e32 v22, v31, v81
	v_sub_f32_e32 v17, v83, v30
	v_add_f32_e32 v3, v13, v3
	v_add_f32_e32 v12, v12, v16
	;; [unrolled: 1-line block ×3, first 2 shown]
	v_sub_f32_e32 v63, v118, v82
	v_add_f32_e32 v66, v66, v1
	v_add_f32_e32 v49, v49, v0
	;; [unrolled: 1-line block ×5, first 2 shown]
	v_sub_f32_e32 v17, v114, v32
	v_add_f32_e32 v3, v15, v3
	v_add_f32_e32 v12, v14, v12
	;; [unrolled: 1-line block ×3, first 2 shown]
	v_sub_f32_e32 v63, v110, v80
	v_add_f32_e32 v67, v67, v117
	v_sub_f32_e32 v55, v120, v55
	v_add_f32_e32 v1, v20, v1
	v_add_f32_e32 v13, v35, v109
	;; [unrolled: 1-line block ×3, first 2 shown]
	v_sub_f32_e32 v16, v107, v34
	v_add_f32_e32 v3, v9, v3
	v_add_f32_e32 v8, v8, v12
	;; [unrolled: 1-line block ×6, first 2 shown]
	v_sub_f32_e32 v55, v115, v57
	v_mul_f32_e32 v100, 0xbf3f9e67, v56
	v_add_f32_e32 v1, v13, v1
	v_add_f32_e32 v13, v39, v122
	;; [unrolled: 1-line block ×3, first 2 shown]
	v_sub_f32_e32 v9, v94, v38
	v_add_f32_e32 v3, v11, v3
	v_add_f32_e32 v8, v10, v8
	;; [unrolled: 1-line block ×3, first 2 shown]
	v_mul_f32_e32 v124, 0x3df6dbef, v56
	v_mul_f32_e32 v105, 0x3f116cb1, v56
	v_sub_f32_e32 v54, v113, v76
	v_add_f32_e32 v47, v47, v63
	v_add_f32_e32 v63, v68, v106
	;; [unrolled: 1-line block ×3, first 2 shown]
	v_sub_f32_e32 v55, v104, v62
	v_mul_f32_e32 v56, 0xbf788fa5, v56
	v_mul_f32_e32 v87, 0xbf788fa5, v72
	v_add_f32_e32 v1, v13, v1
	v_add_f32_e32 v12, v41, v112
	;; [unrolled: 1-line block ×3, first 2 shown]
	v_sub_f32_e32 v9, v100, v40
	v_add_f32_e32 v3, v5, v3
	v_add_f32_e32 v4, v4, v8
	v_mul_f32_e32 v123, 0x3f62ad3f, v72
	v_mul_f32_e32 v88, 0xbf3f9e67, v72
	v_add_f32_e32 v52, v54, v52
	v_sub_f32_e32 v54, v105, v77
	v_add_f32_e32 v47, v63, v47
	v_add_f32_e32 v57, v69, v125
	;; [unrolled: 1-line block ×3, first 2 shown]
	v_sub_f32_e32 v21, v124, v50
	v_fma_f32 v97, 0x3df6dbef, v72, -v97
	v_mul_f32_e32 v72, 0x3f116cb1, v72
	v_sub_f32_e32 v56, v56, v96
	v_add_f32_e32 v1, v12, v1
	v_add_f32_e32 v5, v43, v91
	;; [unrolled: 1-line block ×3, first 2 shown]
	v_sub_f32_e32 v8, v87, v42
	v_add_f32_e32 v7, v7, v3
	v_add_f32_e32 v9, v6, v4
	v_mov_b32_e32 v10, 3
	v_add_f32_e32 v52, v54, v52
	v_sub_f32_e32 v54, v88, v84
	v_add_f32_e32 v47, v57, v47
	v_add_f32_e32 v57, v70, v86
	;; [unrolled: 1-line block ×3, first 2 shown]
	v_sub_f32_e32 v23, v123, v53
	v_add_f32_e32 v48, v65, v108
	v_add_f32_e32 v56, v56, v111
	v_sub_f32_e32 v65, v72, v99
	v_add_f32_e32 v4, v5, v1
	v_add_f32_e32 v3, v8, v0
	;; [unrolled: 1-line block ×4, first 2 shown]
	v_lshlrev_b32_sdwa v0, v10, v103 dst_sel:DWORD dst_unused:UNUSED_PAD src0_sel:DWORD src1_sel:WORD_0
	v_add_f32_e32 v50, v54, v52
	v_add_f32_e32 v2, v57, v47
	;; [unrolled: 1-line block ×7, first 2 shown]
	ds_write2_b64 v0, v[5:6], v[3:4] offset1:1
	ds_write2_b64 v0, v[1:2], v[50:51] offset0:2 offset1:3
	ds_write2_b64 v0, v[47:48], v[45:46] offset0:4 offset1:5
	;; [unrolled: 1-line block ×5, first 2 shown]
	ds_write_b64 v0, v[36:37] offset:96
.LBB0_7:
	s_or_b32 exec_lo, exec_lo, s0
	v_add_nc_u32_e32 v0, 0x1800, v101
	v_add_nc_u32_e32 v1, 0xa00, v101
	;; [unrolled: 1-line block ×3, first 2 shown]
	s_waitcnt lgkmcnt(0)
	s_barrier
	buffer_gl0_inv
	ds_read2_b64 v[4:7], v101 offset1:182
	ds_read2_b64 v[12:15], v0 offset0:51 offset1:233
	ds_read2_b64 v[0:3], v1 offset0:44 offset1:226
	;; [unrolled: 1-line block ×3, first 2 shown]
	v_cmp_gt_u16_e64 s0, 0x5b, v102
	s_and_saveexec_b32 s1, s0
	s_cbranch_execz .LBB0_9
; %bb.8:
	ds_read_b64 v[26:27], v101 offset:5824
	ds_read_b64 v[28:29], v101 offset:12376
.LBB0_9:
	s_or_b32 exec_lo, exec_lo, s1
	v_and_b32_e32 v16, 0xff, v102
	v_mov_b32_e32 v18, 0x4ec5
	v_add_nc_u16 v19, v102, 0x2d8
	v_add_co_u32 v62, s1, 0xb6, v102
	v_mul_lo_u16 v16, 0x4f, v16
	v_add_co_ci_u32_e64 v63, null, 0, 0, s1
	v_add_co_u32 v64, s1, 0x16c, v102
	v_lshrrev_b16 v20, 10, v16
	v_mul_u32_u24_sdwa v17, v19, v18 dst_sel:DWORD dst_unused:UNUSED_PAD src0_sel:WORD_0 src1_sel:DWORD
	v_add_co_u32 v21, null, 0x222, v102
	v_mul_u32_u24_sdwa v16, v62, v18 dst_sel:DWORD dst_unused:UNUSED_PAD src0_sel:WORD_0 src1_sel:DWORD
	v_mul_lo_u16 v22, v20, 13
	v_lshrrev_b32_e32 v23, 18, v17
	v_mul_u32_u24_sdwa v17, v64, v18 dst_sel:DWORD dst_unused:UNUSED_PAD src0_sel:WORD_0 src1_sel:DWORD
	v_mul_u32_u24_sdwa v18, v21, v18 dst_sel:DWORD dst_unused:UNUSED_PAD src0_sel:WORD_0 src1_sel:DWORD
	v_lshrrev_b32_e32 v25, 18, v16
	v_sub_nc_u16 v22, v102, v22
	v_mul_lo_u16 v30, v23, 13
	v_lshrrev_b32_e32 v31, 18, v17
	v_lshrrev_b32_e32 v18, 18, v18
	v_mul_lo_u16 v32, v25, 13
	v_mov_b32_e32 v24, 3
	v_sub_nc_u16 v19, v19, v30
	v_mul_lo_u16 v30, v31, 13
	v_and_b32_e32 v22, 0xff, v22
	v_mul_lo_u16 v33, v18, 13
	v_sub_nc_u16 v32, v62, v32
	v_lshlrev_b32_sdwa v34, v24, v19 dst_sel:DWORD dst_unused:UNUSED_PAD src0_sel:DWORD src1_sel:WORD_0
	v_sub_nc_u16 v30, v64, v30
	v_lshlrev_b32_e32 v35, 3, v22
	v_sub_nc_u16 v21, v21, v33
	v_lshlrev_b32_sdwa v33, v24, v32 dst_sel:DWORD dst_unused:UNUSED_PAD src0_sel:DWORD src1_sel:WORD_0
	global_load_dwordx2 v[79:80], v34, s[8:9]
	v_mad_u16 v25, v25, 26, v32
	global_load_dwordx2 v[87:88], v35, s[8:9]
	v_lshlrev_b32_sdwa v34, v24, v30 dst_sel:DWORD dst_unused:UNUSED_PAD src0_sel:DWORD src1_sel:WORD_0
	v_lshlrev_b32_sdwa v35, v24, v21 dst_sel:DWORD dst_unused:UNUSED_PAD src0_sel:DWORD src1_sel:WORD_0
	s_clause 0x2
	global_load_dwordx2 v[85:86], v33, s[8:9]
	global_load_dwordx2 v[83:84], v34, s[8:9]
	;; [unrolled: 1-line block ×3, first 2 shown]
	v_mov_b32_e32 v33, 26
	v_mad_u16 v30, v31, 26, v30
	s_load_dwordx4 s[4:7], s[2:3], 0x0
	v_mad_u16 v18, v18, 26, v21
	v_mad_u16 v105, v23, 26, v19
	v_mul_u32_u24_sdwa v20, v20, v33 dst_sel:DWORD dst_unused:UNUSED_PAD src0_sel:WORD_0 src1_sel:DWORD
	v_lshlrev_b32_sdwa v108, v24, v25 dst_sel:DWORD dst_unused:UNUSED_PAD src0_sel:DWORD src1_sel:WORD_0
	v_lshlrev_b32_sdwa v107, v24, v30 dst_sel:DWORD dst_unused:UNUSED_PAD src0_sel:DWORD src1_sel:WORD_0
	;; [unrolled: 1-line block ×3, first 2 shown]
	v_add_co_ci_u32_e64 v65, null, 0, 0, s1
	v_add_lshl_u32 v109, v20, v22, 3
	s_waitcnt vmcnt(0) lgkmcnt(0)
	s_barrier
	buffer_gl0_inv
	v_mul_f32_e32 v18, v29, v80
	v_mul_f32_e32 v19, v28, v80
	v_mul_f32_e32 v20, v13, v88
	v_mul_f32_e32 v21, v12, v88
	v_mul_f32_e32 v22, v15, v86
	v_mul_f32_e32 v23, v14, v86
	v_mul_f32_e32 v25, v9, v84
	v_mul_f32_e32 v30, v8, v84
	v_mul_f32_e32 v31, v11, v82
	v_mul_f32_e32 v32, v10, v82
	v_fma_f32 v12, v12, v87, -v20
	v_fmac_f32_e32 v21, v13, v87
	v_fma_f32 v13, v14, v85, -v22
	v_fmac_f32_e32 v23, v15, v85
	;; [unrolled: 2-line block ×5, first 2 shown]
	v_sub_f32_e32 v8, v4, v12
	v_sub_f32_e32 v9, v5, v21
	;; [unrolled: 1-line block ×9, first 2 shown]
	v_fma_f32 v4, v4, 2.0, -v8
	v_fma_f32 v5, v5, 2.0, -v9
	v_sub_f32_e32 v39, v27, v19
	v_fma_f32 v6, v6, 2.0, -v10
	v_fma_f32 v7, v7, 2.0, -v11
	;; [unrolled: 1-line block ×6, first 2 shown]
	ds_write2_b64 v109, v[4:5], v[8:9] offset1:13
	ds_write2_b64 v108, v[6:7], v[10:11] offset1:13
	;; [unrolled: 1-line block ×4, first 2 shown]
	s_and_saveexec_b32 s1, s0
	s_cbranch_execz .LBB0_11
; %bb.10:
	v_fma_f32 v1, v27, 2.0, -v39
	v_fma_f32 v0, v26, 2.0, -v38
	v_lshlrev_b32_sdwa v2, v24, v105 dst_sel:DWORD dst_unused:UNUSED_PAD src0_sel:DWORD src1_sel:WORD_0
	ds_write2_b64 v2, v[0:1], v[38:39] offset1:13
.LBB0_11:
	s_or_b32 exec_lo, exec_lo, s1
	v_and_b32_e32 v0, 0xff, v102
	v_lshrrev_b32_e32 v27, 19, v17
	v_lshrrev_b32_e32 v28, 19, v16
	s_waitcnt lgkmcnt(0)
	s_barrier
	v_mul_lo_u16 v0, 0x4f, v0
	v_mul_lo_u16 v1, v27, 26
	buffer_gl0_inv
	v_add_nc_u32_e32 v4, 0xa00, v101
	v_add_nc_u32_e32 v5, 0x2000, v101
	v_lshrrev_b16 v29, 11, v0
	v_sub_nc_u16 v30, v64, v1
	v_mul_lo_u16 v0, v28, 26
	v_mov_b32_e32 v33, 0x4e
                                        ; implicit-def: $vgpr68
	v_mul_lo_u16 v1, v29, 26
	v_lshlrev_b16 v2, 4, v30
	v_sub_nc_u16 v31, v62, v0
	v_mad_u16 v27, 0x4e, v27, v30
	v_mul_u32_u24_sdwa v29, v29, v33 dst_sel:DWORD dst_unused:UNUSED_PAD src0_sel:WORD_0 src1_sel:DWORD
	v_sub_nc_u16 v0, v102, v1
	v_and_b32_e32 v1, 0xffff, v2
	v_lshlrev_b16 v2, 4, v31
	v_mad_u16 v28, 0x4e, v28, v31
	v_lshlrev_b32_sdwa v110, v24, v27 dst_sel:DWORD dst_unused:UNUSED_PAD src0_sel:DWORD src1_sel:WORD_0
	v_and_b32_e32 v32, 0xff, v0
	v_add_co_u32 v0, s1, s8, v1
	v_add_co_ci_u32_e64 v1, null, s9, 0, s1
	v_and_b32_e32 v2, 0xffff, v2
	v_lshlrev_b32_e32 v3, 4, v32
	v_lshlrev_b32_sdwa v111, v24, v28 dst_sel:DWORD dst_unused:UNUSED_PAD src0_sel:DWORD src1_sel:WORD_0
	global_load_dwordx4 v[12:15], v[0:1], off offset:104
	v_add_lshl_u32 v112, v29, v32, 3
	v_add_co_u32 v0, s1, s8, v2
	v_add_co_ci_u32_e64 v1, null, s9, 0, s1
	s_clause 0x1
	global_load_dwordx4 v[20:23], v3, s[8:9] offset:104
	global_load_dwordx4 v[16:19], v[0:1], off offset:104
	v_add_nc_u32_e32 v0, 0x1600, v101
	v_add_nc_u32_e32 v30, 0xe00, v101
	;; [unrolled: 1-line block ×3, first 2 shown]
	v_cmp_gt_u16_e64 s1, 52, v102
	ds_read2_b64 v[0:3], v0 offset0:24 offset1:206
	ds_read_b64 v[25:26], v101 offset:11648
	ds_read2_b64 v[40:43], v4 offset0:44 offset1:226
	ds_read2_b64 v[4:7], v5 offset0:68 offset1:250
	ds_read2_b64 v[8:11], v101 offset1:182
	s_waitcnt vmcnt(0) lgkmcnt(0)
	s_barrier
	buffer_gl0_inv
	v_mul_f32_e32 v24, v3, v13
	v_mul_f32_e32 v27, v2, v13
	;; [unrolled: 1-line block ×4, first 2 shown]
	v_fma_f32 v2, v2, v12, -v24
	v_fmac_f32_e32 v27, v3, v12
	v_mul_f32_e32 v32, v43, v21
	v_mul_f32_e32 v33, v42, v21
	;; [unrolled: 1-line block ×8, first 2 shown]
	v_fma_f32 v3, v25, v14, -v28
	v_fmac_f32_e32 v29, v26, v14
	v_fma_f32 v24, v42, v20, -v32
	v_fmac_f32_e32 v33, v43, v20
	;; [unrolled: 2-line block ×5, first 2 shown]
	v_add_f32_e32 v1, v40, v2
	v_add_f32_e32 v5, v2, v3
	v_sub_f32_e32 v25, v27, v29
	v_add_f32_e32 v7, v41, v27
	v_add_f32_e32 v26, v27, v29
	v_sub_f32_e32 v27, v2, v3
	;; [unrolled: 3-line block ×3, first 2 shown]
	v_add_f32_e32 v34, v9, v33
	v_add_f32_e32 v33, v33, v35
	;; [unrolled: 1-line block ×3, first 2 shown]
	v_sub_f32_e32 v44, v45, v47
	v_add_f32_e32 v46, v11, v45
	v_add_f32_e32 v45, v45, v47
	v_sub_f32_e32 v24, v24, v4
	v_fma_f32 v40, -0.5, v5, v40
	v_add_f32_e32 v2, v2, v4
	v_fma_f32 v4, -0.5, v28, v8
	v_fma_f32 v5, -0.5, v33, v9
	v_add_f32_e32 v42, v10, v0
	v_sub_f32_e32 v48, v0, v6
	v_fma_f32 v10, -0.5, v43, v10
	v_fmac_f32_e32 v11, -0.5, v45
	v_fmac_f32_e32 v41, -0.5, v26
	v_add_f32_e32 v0, v1, v3
	v_add_f32_e32 v3, v34, v35
	v_fmamk_f32 v8, v32, 0x3f5db3d7, v4
	v_fmamk_f32 v9, v24, 0xbf5db3d7, v5
	v_fmac_f32_e32 v4, 0xbf5db3d7, v32
	v_fmac_f32_e32 v5, 0x3f5db3d7, v24
	v_add_f32_e32 v1, v7, v29
	v_add_f32_e32 v6, v42, v6
	;; [unrolled: 1-line block ×3, first 2 shown]
	v_fmamk_f32 v42, v25, 0x3f5db3d7, v40
	v_fmac_f32_e32 v40, 0xbf5db3d7, v25
	v_fmamk_f32 v24, v44, 0x3f5db3d7, v10
	v_fmamk_f32 v25, v48, 0xbf5db3d7, v11
	v_fmac_f32_e32 v10, 0xbf5db3d7, v44
	v_fmac_f32_e32 v11, 0x3f5db3d7, v48
	v_fmamk_f32 v43, v27, 0xbf5db3d7, v41
	v_fmac_f32_e32 v41, 0x3f5db3d7, v27
	ds_write2_b64 v112, v[2:3], v[8:9] offset1:26
	ds_write_b64 v112, v[4:5] offset:416
	ds_write2_b64 v111, v[6:7], v[24:25] offset1:26
	ds_write_b64 v111, v[10:11] offset:416
	;; [unrolled: 2-line block ×3, first 2 shown]
	s_waitcnt lgkmcnt(0)
	s_barrier
	buffer_gl0_inv
	ds_read2_b64 v[46:49], v101 offset1:234
	ds_read2_b64 v[54:57], v30 offset0:20 offset1:254
	ds_read2_b64 v[50:53], v31 offset0:8 offset1:242
	ds_read_b64 v[66:67], v101 offset:11232
	s_and_saveexec_b32 s2, s1
	s_cbranch_execz .LBB0_13
; %bb.12:
	v_add_nc_u32_e32 v0, 0x1400, v101
	v_add_nc_u32_e32 v1, 0x2280, v101
	;; [unrolled: 1-line block ×3, first 2 shown]
	ds_read2_b64 v[38:41], v0 offset0:10 offset1:244
	ds_read2_b64 v[34:37], v1 offset0:14 offset1:248
	;; [unrolled: 1-line block ×3, first 2 shown]
	ds_read_b64 v[68:69], v101 offset:12688
	s_waitcnt lgkmcnt(3)
	v_mov_b32_e32 v60, v40
	v_mov_b32_e32 v61, v41
	s_waitcnt lgkmcnt(2)
	v_mov_b32_e32 v58, v34
	v_mov_b32_e32 v59, v35
	;; [unrolled: 3-line block ×3, first 2 shown]
.LBB0_13:
	s_or_b32 exec_lo, exec_lo, s2
	v_lshrrev_b16 v0, 1, v62
	v_mov_b32_e32 v1, 0x6907
	v_lshrrev_b16 v2, 1, v102
	v_mov_b32_e32 v70, 0x222
	v_mul_u32_u24_sdwa v0, v0, v1 dst_sel:DWORD dst_unused:UNUSED_PAD src0_sel:WORD_0 src1_sel:DWORD
	v_and_b32_e32 v1, 0x7f, v2
	v_lshrrev_b32_e32 v0, 20, v0
	v_mul_lo_u16 v1, 0xd3, v1
	v_mul_lo_u16 v0, 0x4e, v0
	v_lshrrev_b16 v44, 13, v1
	v_sub_nc_u16 v104, v62, v0
	v_mul_lo_u16 v0, 0x4e, v44
	v_mul_u32_u24_sdwa v44, v44, v70 dst_sel:DWORD dst_unused:UNUSED_PAD src0_sel:WORD_0 src1_sel:DWORD
	v_mul_lo_u16 v1, v104, 48
	v_sub_nc_u16 v0, v102, v0
	v_and_b32_e32 v1, 0xffff, v1
	v_and_b32_e32 v45, 0xff, v0
	v_add_co_u32 v8, s2, s8, v1
	v_mad_u64_u32 v[10:11], null, v45, 48, s[8:9]
	v_add_co_ci_u32_e64 v9, null, s9, 0, s2
	s_clause 0x5
	global_load_dwordx4 v[0:3], v[8:9], off offset:536
	global_load_dwordx4 v[4:7], v[8:9], off offset:552
	;; [unrolled: 1-line block ×6, first 2 shown]
	v_add_lshl_u32 v113, v44, v45, 3
	s_waitcnt vmcnt(0) lgkmcnt(0)
	s_barrier
	buffer_gl0_inv
	v_add_nc_u32_e32 v70, 0x800, v113
	v_mul_f32_e32 v44, v61, v1
	v_mul_f32_e32 v71, v59, v3
	;; [unrolled: 1-line block ×24, first 2 shown]
	v_fma_f32 v44, v60, v0, -v44
	v_fma_f32 v58, v58, v2, -v71
	v_fma_f32 v36, v36, v4, -v73
	v_fmac_f32_e32 v74, v37, v4
	v_fma_f32 v37, v68, v6, -v75
	v_fmac_f32_e32 v76, v69, v6
	v_fma_f32 v48, v48, v32, -v77
	;; [unrolled: 2-line block ×9, first 2 shown]
	v_fmac_f32_e32 v116, v39, v10
	v_fmac_f32_e32 v45, v61, v0
	;; [unrolled: 1-line block ×3, first 2 shown]
	v_add_f32_e32 v39, v44, v58
	v_sub_f32_e32 v44, v58, v44
	v_add_f32_e32 v53, v48, v52
	v_add_f32_e32 v55, v89, v99
	v_sub_f32_e32 v48, v48, v52
	v_sub_f32_e32 v52, v89, v99
	v_add_f32_e32 v56, v49, v51
	v_add_f32_e32 v57, v91, v97
	v_sub_f32_e32 v49, v49, v51
	v_sub_f32_e32 v51, v91, v97
	v_add_f32_e32 v58, v54, v50
	v_add_f32_e32 v59, v93, v95
	v_sub_f32_e32 v50, v50, v54
	v_sub_f32_e32 v54, v95, v93
	v_add_f32_e32 v60, v40, v37
	v_add_f32_e32 v61, v114, v76
	;; [unrolled: 1-line block ×5, first 2 shown]
	v_sub_f32_e32 v45, v72, v45
	v_sub_f32_e32 v37, v40, v37
	;; [unrolled: 1-line block ×5, first 2 shown]
	v_add_f32_e32 v68, v56, v53
	v_add_f32_e32 v69, v57, v55
	v_sub_f32_e32 v71, v56, v53
	v_sub_f32_e32 v72, v57, v55
	;; [unrolled: 1-line block ×6, first 2 shown]
	v_add_f32_e32 v73, v50, v49
	v_add_f32_e32 v74, v54, v51
	v_sub_f32_e32 v75, v50, v49
	v_sub_f32_e32 v76, v54, v51
	;; [unrolled: 1-line block ×4, first 2 shown]
	v_add_f32_e32 v77, v66, v60
	v_add_f32_e32 v89, v67, v61
	v_sub_f32_e32 v50, v48, v50
	v_sub_f32_e32 v54, v52, v54
	;; [unrolled: 1-line block ×8, first 2 shown]
	v_add_f32_e32 v92, v44, v36
	v_add_f32_e32 v93, v45, v38
	v_sub_f32_e32 v94, v44, v36
	v_sub_f32_e32 v95, v45, v38
	;; [unrolled: 1-line block ×4, first 2 shown]
	v_add_f32_e32 v58, v58, v68
	v_add_f32_e32 v59, v59, v69
	;; [unrolled: 1-line block ×4, first 2 shown]
	v_mul_f32_e32 v36, 0x3f4a47b2, v53
	v_mul_f32_e32 v38, 0x3f4a47b2, v55
	;; [unrolled: 1-line block ×8, first 2 shown]
	v_add_f32_e32 v75, v39, v77
	v_add_f32_e32 v41, v41, v89
	v_sub_f32_e32 v96, v37, v44
	v_sub_f32_e32 v97, v40, v45
	v_add_f32_e32 v76, v92, v37
	v_add_f32_e32 v40, v93, v40
	v_mul_f32_e32 v39, 0x3f4a47b2, v60
	v_mul_f32_e32 v60, 0x3f4a47b2, v61
	;; [unrolled: 1-line block ×8, first 2 shown]
	v_add_f32_e32 v44, v46, v58
	v_add_f32_e32 v45, v47, v59
	v_fmamk_f32 v46, v56, 0x3d64c772, v36
	v_fmamk_f32 v47, v57, 0x3d64c772, v38
	v_fma_f32 v53, 0x3f3bfb3b, v71, -v53
	v_fma_f32 v55, 0x3f3bfb3b, v72, -v55
	;; [unrolled: 1-line block ×4, first 2 shown]
	v_fmamk_f32 v71, v50, 0x3eae86e6, v68
	v_fmamk_f32 v72, v54, 0x3eae86e6, v69
	v_fma_f32 v68, 0x3f5ff5aa, v49, -v68
	v_fma_f32 v51, 0x3f5ff5aa, v51, -v69
	;; [unrolled: 1-line block ×4, first 2 shown]
	v_add_f32_e32 v36, v42, v75
	v_add_f32_e32 v37, v43, v41
	v_fmamk_f32 v42, v66, 0x3d64c772, v39
	v_fmamk_f32 v43, v67, 0x3d64c772, v60
	v_fma_f32 v49, 0x3f3bfb3b, v90, -v61
	v_fma_f32 v61, 0x3f3bfb3b, v91, -v77
	;; [unrolled: 1-line block ×4, first 2 shown]
	v_fmamk_f32 v38, v96, 0x3eae86e6, v89
	v_fmamk_f32 v39, v97, 0x3eae86e6, v92
	v_fma_f32 v67, 0x3f5ff5aa, v98, -v89
	v_fma_f32 v69, 0x3f5ff5aa, v99, -v92
	;; [unrolled: 1-line block ×4, first 2 shown]
	v_fmamk_f32 v58, v58, 0xbf955555, v44
	v_fmamk_f32 v59, v59, 0xbf955555, v45
	v_fmac_f32_e32 v71, 0x3ee1c552, v48
	v_fmac_f32_e32 v72, 0x3ee1c552, v52
	;; [unrolled: 1-line block ×6, first 2 shown]
	v_fmamk_f32 v48, v75, 0xbf955555, v36
	v_fmamk_f32 v52, v41, 0xbf955555, v37
	v_fmac_f32_e32 v38, 0x3ee1c552, v76
	v_fmac_f32_e32 v39, 0x3ee1c552, v40
	;; [unrolled: 1-line block ×6, first 2 shown]
	v_add_f32_e32 v75, v46, v58
	v_add_f32_e32 v76, v47, v59
	;; [unrolled: 1-line block ×13, first 2 shown]
	v_sub_f32_e32 v43, v76, v71
	v_add_f32_e32 v46, v54, v58
	v_sub_f32_e32 v47, v59, v50
	v_sub_f32_e32 v48, v53, v51
	v_add_f32_e32 v49, v68, v55
	v_add_f32_e32 v56, v51, v53
	v_sub_f32_e32 v57, v55, v68
	v_sub_f32_e32 v58, v58, v54
	v_add_f32_e32 v59, v50, v59
	v_add_f32_e32 v50, v74, v66
	v_sub_f32_e32 v51, v90, v73
	v_sub_f32_e32 v52, v77, v69
	v_add_f32_e32 v53, v67, v89
	v_add_f32_e32 v54, v69, v77
	v_sub_f32_e32 v55, v89, v67
	v_sub_f32_e32 v91, v66, v74
	v_add_f32_e32 v92, v73, v90
	v_sub_f32_e32 v89, v40, v39
	v_add_f32_e32 v90, v38, v41
	v_sub_f32_e32 v60, v75, v72
	v_add_f32_e32 v61, v71, v76
	ds_write2_b64 v113, v[44:45], v[42:43] offset1:78
	ds_write2_b64 v113, v[46:47], v[48:49] offset0:156 offset1:234
	ds_write2_b64 v70, v[56:57], v[58:59] offset0:56 offset1:134
	ds_write_b64 v113, v[60:61] offset:3744
	s_and_saveexec_b32 s2, s1
	s_cbranch_execz .LBB0_15
; %bb.14:
	v_mov_b32_e32 v42, 3
	v_sub_f32_e32 v41, v41, v38
	v_add_f32_e32 v40, v39, v40
	v_lshlrev_b32_sdwa v42, v42, v104 dst_sel:DWORD dst_unused:UNUSED_PAD src0_sel:DWORD src1_sel:WORD_0
	v_add_nc_u32_e32 v38, 0x2000, v42
	v_add_nc_u32_e32 v39, 0x2400, v42
	;; [unrolled: 1-line block ×3, first 2 shown]
	ds_write2_b64 v38, v[36:37], v[40:41] offset0:68 offset1:146
	ds_write2_b64 v39, v[50:51], v[52:53] offset0:96 offset1:174
	;; [unrolled: 1-line block ×3, first 2 shown]
	ds_write_b64 v42, v[89:90] offset:12480
.LBB0_15:
	s_or_b32 exec_lo, exec_lo, s2
	v_lshlrev_b32_e32 v36, 4, v102
	v_lshlrev_b64 v[40:41], 4, v[62:63]
	v_lshlrev_b64 v[42:43], 4, v[64:65]
	s_waitcnt lgkmcnt(0)
	s_barrier
	v_add_co_u32 v36, s2, s8, v36
	v_add_co_ci_u32_e64 v37, null, s9, 0, s2
	buffer_gl0_inv
	v_add_co_u32 v36, s2, 0x1000, v36
	v_add_co_ci_u32_e64 v37, s2, 0, v37, s2
	v_add_co_u32 v40, s2, s8, v40
	v_add_co_ci_u32_e64 v41, s2, s9, v41, s2
	;; [unrolled: 2-line block ×5, first 2 shown]
	s_clause 0x2
	global_load_dwordx4 v[36:39], v[36:37], off offset:168
	global_load_dwordx4 v[44:47], v[40:41], off offset:168
	;; [unrolled: 1-line block ×3, first 2 shown]
	v_add_nc_u32_e32 v49, 0xa00, v101
	v_add_nc_u32_e32 v48, 0x2000, v101
	;; [unrolled: 1-line block ×3, first 2 shown]
	ds_read2_b64 v[58:61], v49 offset0:44 offset1:226
	ds_read2_b64 v[66:69], v48 offset0:68 offset1:250
	;; [unrolled: 1-line block ×3, first 2 shown]
	ds_read_b64 v[56:57], v101 offset:11648
	ds_read2_b64 v[62:65], v101 offset1:182
	s_waitcnt vmcnt(2) lgkmcnt(4)
	v_mul_f32_e32 v74, v61, v37
	v_mul_f32_e32 v75, v60, v37
	s_waitcnt lgkmcnt(3)
	v_mul_f32_e32 v76, v67, v39
	v_mul_f32_e32 v77, v66, v39
	s_waitcnt vmcnt(1) lgkmcnt(2)
	v_mul_f32_e32 v94, v71, v45
	v_mul_f32_e32 v95, v70, v45
	;; [unrolled: 1-line block ×4, first 2 shown]
	s_waitcnt vmcnt(0)
	v_mul_f32_e32 v98, v73, v41
	v_mul_f32_e32 v99, v72, v41
	s_waitcnt lgkmcnt(1)
	v_mul_f32_e32 v100, v57, v43
	v_mul_f32_e32 v114, v56, v43
	v_fma_f32 v60, v60, v36, -v74
	v_fmac_f32_e32 v75, v61, v36
	v_fma_f32 v61, v66, v38, -v76
	v_fmac_f32_e32 v77, v67, v38
	;; [unrolled: 2-line block ×6, first 2 shown]
	v_add_f32_e32 v69, v60, v61
	v_add_f32_e32 v71, v75, v77
	;; [unrolled: 1-line block ×3, first 2 shown]
	v_sub_f32_e32 v96, v95, v97
	s_waitcnt lgkmcnt(0)
	v_add_f32_e32 v98, v65, v95
	v_add_f32_e32 v95, v95, v97
	;; [unrolled: 1-line block ×3, first 2 shown]
	v_sub_f32_e32 v117, v99, v114
	v_add_f32_e32 v118, v59, v99
	v_add_f32_e32 v99, v99, v114
	v_add_f32_e32 v57, v62, v60
	v_sub_f32_e32 v72, v75, v77
	v_add_f32_e32 v70, v63, v75
	v_sub_f32_e32 v60, v60, v61
	v_add_f32_e32 v73, v64, v66
	;; [unrolled: 2-line block ×3, first 2 shown]
	v_sub_f32_e32 v119, v67, v56
	v_fma_f32 v74, -0.5, v69, v62
	v_fma_f32 v75, -0.5, v71, v63
	;; [unrolled: 1-line block ×3, first 2 shown]
	v_fmac_f32_e32 v65, -0.5, v95
	v_fma_f32 v58, -0.5, v116, v58
	v_fmac_f32_e32 v59, -0.5, v99
	v_add_f32_e32 v66, v57, v61
	v_add_f32_e32 v67, v70, v77
	;; [unrolled: 1-line block ×6, first 2 shown]
	v_fmamk_f32 v68, v72, 0x3f5db3d7, v74
	v_fmac_f32_e32 v74, 0xbf5db3d7, v72
	v_fmamk_f32 v69, v60, 0xbf5db3d7, v75
	v_fmac_f32_e32 v75, 0x3f5db3d7, v60
	;; [unrolled: 2-line block ×6, first 2 shown]
	ds_write2_b64 v101, v[66:67], v[76:77] offset1:182
	ds_write2_b64 v49, v[70:71], v[68:69] offset0:44 offset1:226
	ds_write2_b64 v48, v[74:75], v[64:65] offset0:68 offset1:250
	ds_write2_b64 v93, v[62:63], v[72:73] offset0:24 offset1:206
	ds_write_b64 v101, v[58:59] offset:11648
	s_waitcnt lgkmcnt(0)
	s_barrier
	buffer_gl0_inv
	s_and_saveexec_b32 s3, vcc_lo
	s_cbranch_execz .LBB0_17
; %bb.16:
	v_add_co_u32 v49, s2, s14, v101
	v_add_co_ci_u32_e64 v99, null, s15, 0, s2
	v_add_nc_u32_e32 v152, 0x1000, v101
	v_add_co_u32 v56, s2, 0x3000, v49
	v_add_co_ci_u32_e64 v57, s2, 0, v99, s2
	v_add_co_u32 v60, s2, 0x3330, v49
	v_add_co_ci_u32_e64 v61, s2, 0, v99, s2
	global_load_dwordx2 v[56:57], v[56:57], off offset:816
	v_add_co_u32 v93, s2, 0x3800, v49
	v_add_co_ci_u32_e64 v94, s2, 0, v99, s2
	v_add_co_u32 v95, s2, 0x4000, v49
	v_add_co_ci_u32_e64 v96, s2, 0, v99, s2
	;; [unrolled: 2-line block ×3, first 2 shown]
	s_clause 0x2
	global_load_dwordx2 v[130:131], v[60:61], off offset:1008
	global_load_dwordx2 v[132:133], v[93:94], off offset:1792
	;; [unrolled: 1-line block ×3, first 2 shown]
	v_add_co_u32 v93, s2, 0x5000, v49
	v_add_co_ci_u32_e64 v94, s2, 0, v99, s2
	s_clause 0x1
	global_load_dwordx2 v[134:135], v[95:96], off offset:752
	global_load_dwordx2 v[136:137], v[95:96], off offset:1760
	v_add_co_u32 v95, s2, 0x5800, v49
	v_add_co_ci_u32_e64 v96, s2, 0, v99, s2
	s_clause 0x3
	global_load_dwordx2 v[138:139], v[97:98], off offset:720
	global_load_dwordx2 v[140:141], v[97:98], off offset:1728
	;; [unrolled: 1-line block ×4, first 2 shown]
	v_add_co_u32 v93, s2, 0x6000, v49
	v_add_co_ci_u32_e64 v94, s2, 0, v99, s2
	s_clause 0x2
	global_load_dwordx2 v[146:147], v[95:96], off offset:656
	global_load_dwordx2 v[148:149], v[95:96], off offset:1664
	;; [unrolled: 1-line block ×3, first 2 shown]
	ds_read_b64 v[93:94], v101
	v_add_nc_u32_e32 v153, 0x1800, v101
	v_add_nc_u32_e32 v154, 0x2800, v101
	s_waitcnt vmcnt(12) lgkmcnt(0)
	v_mul_f32_e32 v49, v94, v57
	v_mul_f32_e32 v96, v93, v57
	v_fma_f32 v95, v93, v56, -v49
	v_fmac_f32_e32 v96, v94, v56
	v_add_nc_u32_e32 v49, 0x800, v101
	ds_write_b64 v101, v[95:96]
	ds_read2_b64 v[93:96], v101 offset0:126 offset1:252
	ds_read2_b64 v[97:100], v49 offset0:122 offset1:248
	;; [unrolled: 1-line block ×6, first 2 shown]
	s_waitcnt vmcnt(11) lgkmcnt(5)
	v_mul_f32_e32 v56, v94, v131
	v_mul_f32_e32 v57, v93, v131
	s_waitcnt vmcnt(9)
	v_mul_f32_e32 v155, v96, v61
	v_mul_f32_e32 v131, v95, v61
	s_waitcnt lgkmcnt(4)
	v_mul_f32_e32 v156, v98, v133
	v_mul_f32_e32 v61, v97, v133
	s_waitcnt vmcnt(8)
	v_mul_f32_e32 v157, v100, v135
	v_mul_f32_e32 v133, v99, v135
	s_waitcnt vmcnt(7) lgkmcnt(3)
	v_mul_f32_e32 v158, v115, v137
	v_mul_f32_e32 v135, v114, v137
	s_waitcnt vmcnt(6)
	v_mul_f32_e32 v159, v117, v139
	v_mul_f32_e32 v137, v116, v139
	s_waitcnt vmcnt(5) lgkmcnt(2)
	;; [unrolled: 6-line block ×4, first 2 shown]
	v_mul_f32_e32 v164, v127, v149
	v_mul_f32_e32 v147, v126, v149
	s_waitcnt vmcnt(0)
	v_mul_f32_e32 v165, v129, v151
	v_mul_f32_e32 v149, v128, v151
	v_fma_f32 v56, v93, v130, -v56
	v_fmac_f32_e32 v57, v94, v130
	v_fma_f32 v130, v95, v60, -v155
	v_fmac_f32_e32 v131, v96, v60
	;; [unrolled: 2-line block ×12, first 2 shown]
	ds_write2_b64 v101, v[56:57], v[130:131] offset0:126 offset1:252
	ds_write2_b64 v49, v[60:61], v[132:133] offset0:122 offset1:248
	;; [unrolled: 1-line block ×6, first 2 shown]
.LBB0_17:
	s_or_b32 exec_lo, exec_lo, s3
	s_waitcnt lgkmcnt(0)
	s_barrier
	buffer_gl0_inv
	s_and_saveexec_b32 s2, vcc_lo
	s_cbranch_execz .LBB0_19
; %bb.18:
	v_add_nc_u32_e32 v48, 0x1c00, v101
	v_add_nc_u32_e32 v52, 0x400, v101
	;; [unrolled: 1-line block ×5, first 2 shown]
	ds_read2_b64 v[48:51], v48 offset0:112 offset1:238
	ds_read2_b64 v[66:69], v101 offset1:126
	ds_read_b64 v[91:92], v101 offset:12096
	ds_read2_b64 v[74:77], v52 offset0:124 offset1:250
	ds_read2_b64 v[62:65], v53 offset0:120 offset1:246
	;; [unrolled: 1-line block ×4, first 2 shown]
	s_waitcnt lgkmcnt(6)
	v_mov_b32_e32 v58, v48
	v_mov_b32_e32 v59, v49
.LBB0_19:
	s_or_b32 exec_lo, exec_lo, s2
	s_waitcnt lgkmcnt(4)
	v_sub_f32_e32 v136, v69, v92
	v_add_f32_e32 v148, v92, v69
	v_add_f32_e32 v135, v91, v68
	v_sub_f32_e32 v140, v68, v91
	s_waitcnt lgkmcnt(0)
	v_sub_f32_e32 v147, v75, v55
	v_mul_f32_e32 v137, 0xbeedf032, v136
	v_mul_f32_e32 v141, 0x3f62ad3f, v148
	v_mul_f32_e32 v146, 0x3f116cb1, v148
	v_mul_f32_e32 v149, 0xbf7e222b, v136
	v_mul_f32_e32 v145, 0xbf52af12, v136
	v_fma_f32 v48, 0x3f62ad3f, v135, -v137
	v_fmamk_f32 v49, v140, 0xbeedf032, v141
	v_mul_f32_e32 v150, 0x3df6dbef, v148
	v_mul_f32_e32 v153, 0xbf6f5d39, v136
	v_fma_f32 v56, 0x3f116cb1, v135, -v145
	v_add_f32_e32 v57, v66, v48
	v_add_f32_e32 v93, v67, v49
	v_fmamk_f32 v48, v140, 0xbf52af12, v146
	v_fma_f32 v49, 0x3df6dbef, v135, -v149
	v_fmamk_f32 v60, v140, 0xbf7e222b, v150
	v_fma_f32 v61, 0xbeb58ec6, v135, -v153
	v_add_f32_e32 v120, v55, v75
	v_add_f32_e32 v95, v67, v48
	;; [unrolled: 1-line block ×4, first 2 shown]
	v_mul_f32_e32 v49, 0xbf52af12, v147
	v_mul_f32_e32 v114, 0xbf6f5d39, v147
	v_add_f32_e32 v56, v66, v56
	v_mul_f32_e32 v154, 0xbeb58ec6, v148
	v_add_f32_e32 v97, v67, v60
	v_add_f32_e32 v98, v66, v61
	v_mul_f32_e32 v167, 0xbf3f9e67, v148
	v_sub_f32_e32 v60, v74, v54
	v_mul_f32_e32 v61, 0x3f116cb1, v120
	v_fma_f32 v115, 0x3f116cb1, v48, -v49
	v_fma_f32 v118, 0xbeb58ec6, v48, -v114
	v_mul_f32_e32 v117, 0xbeb58ec6, v120
	v_mul_f32_e32 v131, 0xbf788fa5, v120
	v_fmamk_f32 v94, v140, 0xbf6f5d39, v154
	v_mul_f32_e32 v163, 0xbf29c268, v136
	v_fmamk_f32 v100, v140, 0xbf29c268, v167
	v_fmamk_f32 v116, v60, 0xbf52af12, v61
	v_add_f32_e32 v57, v115, v57
	v_add_f32_e32 v56, v118, v56
	v_mul_f32_e32 v129, 0xbe750f2a, v147
	v_fmamk_f32 v115, v60, 0xbf6f5d39, v117
	v_mul_f32_e32 v124, 0xbf3f9e67, v120
	v_fmamk_f32 v118, v60, 0xbe750f2a, v131
	v_mul_f32_e32 v155, 0x3df6dbef, v120
	v_add_f32_e32 v130, v53, v77
	v_add_f32_e32 v94, v67, v94
	v_fma_f32 v99, 0xbf3f9e67, v135, -v163
	v_add_f32_e32 v100, v67, v100
	v_add_f32_e32 v93, v116, v93
	v_fma_f32 v116, 0xbf788fa5, v48, -v129
	v_add_f32_e32 v95, v115, v95
	v_fmamk_f32 v115, v60, 0x3f29c268, v124
	v_add_f32_e32 v97, v118, v97
	v_mul_f32_e32 v152, 0x3f7e222b, v147
	v_sub_f32_e32 v168, v77, v53
	v_sub_f32_e32 v118, v76, v52
	v_fmamk_f32 v123, v60, 0x3f7e222b, v155
	v_mul_f32_e32 v126, 0xbf788fa5, v130
	v_add_f32_e32 v99, v66, v99
	v_add_f32_e32 v96, v116, v96
	;; [unrolled: 1-line block ×3, first 2 shown]
	v_fma_f32 v122, 0x3df6dbef, v48, -v152
	v_add_f32_e32 v116, v52, v76
	v_mul_f32_e32 v115, 0xbf7e222b, v168
	v_add_f32_e32 v100, v123, v100
	v_fmamk_f32 v123, v118, 0xbe750f2a, v126
	v_mul_f32_e32 v151, 0x3f6f5d39, v168
	v_mul_f32_e32 v121, 0x3f29c268, v147
	v_add_f32_e32 v99, v122, v99
	v_mul_f32_e32 v122, 0xbe750f2a, v168
	v_fma_f32 v125, 0x3df6dbef, v116, -v115
	v_mul_f32_e32 v156, 0xbeb58ec6, v130
	v_add_f32_e32 v95, v123, v95
	v_fma_f32 v123, 0xbeb58ec6, v116, -v151
	v_mul_f32_e32 v170, 0xbf52af12, v168
	v_fma_f32 v119, 0xbf3f9e67, v48, -v121
	v_fma_f32 v128, 0xbf788fa5, v116, -v122
	v_add_f32_e32 v57, v125, v57
	v_mul_f32_e32 v138, 0x3f62ad3f, v130
	v_fmamk_f32 v125, v118, 0x3f6f5d39, v156
	v_add_f32_e32 v96, v123, v96
	v_fma_f32 v123, 0x3f116cb1, v116, -v170
	v_sub_f32_e32 v178, v63, v51
	v_add_f32_e32 v98, v119, v98
	v_mul_f32_e32 v119, 0x3df6dbef, v130
	v_add_f32_e32 v56, v128, v56
	v_fmamk_f32 v128, v118, 0x3eedf032, v138
	v_add_f32_e32 v97, v125, v97
	v_mul_f32_e32 v176, 0x3f116cb1, v130
	v_add_f32_e32 v157, v51, v63
	v_add_f32_e32 v99, v123, v99
	;; [unrolled: 1-line block ×3, first 2 shown]
	v_mul_f32_e32 v123, 0xbf6f5d39, v178
	v_fmamk_f32 v127, v118, 0xbf7e222b, v119
	v_mul_f32_e32 v132, 0x3eedf032, v168
	v_add_f32_e32 v94, v128, v94
	v_sub_f32_e32 v128, v62, v50
	v_fmamk_f32 v133, v118, 0xbf52af12, v176
	v_mul_f32_e32 v134, 0x3f29c268, v178
	v_fma_f32 v139, 0xbeb58ec6, v125, -v123
	v_mul_f32_e32 v142, 0xbf3f9e67, v157
	v_add_f32_e32 v93, v127, v93
	v_fma_f32 v127, 0x3f62ad3f, v116, -v132
	v_add_f32_e32 v100, v133, v100
	v_fma_f32 v133, 0xbf3f9e67, v125, -v134
	v_add_f32_e32 v57, v139, v57
	v_fmamk_f32 v139, v128, 0x3f29c268, v142
	v_mul_f32_e32 v171, 0x3eedf032, v178
	v_mul_f32_e32 v172, 0x3f62ad3f, v157
	v_add_f32_e32 v98, v127, v98
	v_mul_f32_e32 v127, 0xbeb58ec6, v157
	v_add_f32_e32 v56, v133, v56
	v_add_f32_e32 v95, v139, v95
	v_fma_f32 v133, 0x3f62ad3f, v125, -v171
	v_mul_f32_e32 v162, 0x3df6dbef, v157
	v_fmamk_f32 v139, v128, 0x3eedf032, v172
	v_mul_f32_e32 v179, 0x3e750f2a, v178
	v_fmamk_f32 v143, v128, 0xbf6f5d39, v127
	v_mul_f32_e32 v158, 0xbf7e222b, v178
	v_add_f32_e32 v96, v133, v96
	v_fmamk_f32 v133, v128, 0xbf7e222b, v162
	v_add_f32_e32 v97, v139, v97
	v_fma_f32 v139, 0xbf788fa5, v125, -v179
	v_mul_f32_e32 v182, 0xbf788fa5, v157
	v_sub_f32_e32 v186, v65, v59
	v_add_f32_e32 v93, v143, v93
	v_fma_f32 v143, 0x3df6dbef, v125, -v158
	v_add_f32_e32 v94, v133, v94
	v_add_f32_e32 v99, v139, v99
	;; [unrolled: 1-line block ×3, first 2 shown]
	v_fmamk_f32 v159, v128, 0x3e750f2a, v182
	v_add_f32_e32 v139, v58, v64
	v_mul_f32_e32 v133, 0xbf29c268, v186
	v_add_f32_e32 v98, v143, v98
	v_sub_f32_e32 v144, v64, v58
	v_mul_f32_e32 v143, 0xbf3f9e67, v174
	v_add_f32_e32 v100, v159, v100
	v_mul_f32_e32 v160, 0x3f7e222b, v186
	v_fma_f32 v159, 0xbf3f9e67, v139, -v133
	v_mul_f32_e32 v164, 0x3df6dbef, v174
	v_fmamk_f32 v161, v144, 0xbf29c268, v143
	v_mul_f32_e32 v181, 0xbf52af12, v186
	v_fma_f32 v165, 0x3df6dbef, v139, -v160
	v_add_f32_e32 v57, v159, v57
	v_fmamk_f32 v159, v144, 0x3f7e222b, v164
	v_mul_f32_e32 v183, 0x3f116cb1, v174
	v_mul_f32_e32 v173, 0x3e750f2a, v186
	v_add_f32_e32 v93, v161, v93
	v_fma_f32 v161, 0x3f116cb1, v139, -v181
	v_add_f32_e32 v180, v165, v56
	v_add_f32_e32 v184, v159, v95
	v_mul_f32_e32 v177, 0xbf788fa5, v174
	v_fmamk_f32 v56, v144, 0xbf52af12, v183
	v_mul_f32_e32 v188, 0x3eedf032, v186
	v_fma_f32 v95, 0xbf788fa5, v139, -v173
	v_mul_f32_e32 v189, 0x3f62ad3f, v174
	v_sub_f32_e32 v191, v71, v73
	v_add_f32_e32 v185, v73, v71
	v_add_f32_e32 v192, v161, v96
	v_fmamk_f32 v96, v144, 0x3e750f2a, v177
	v_add_f32_e32 v97, v56, v97
	v_fma_f32 v56, 0x3f62ad3f, v139, -v188
	v_add_f32_e32 v98, v95, v98
	v_fmamk_f32 v95, v144, 0x3eedf032, v189
	v_add_f32_e32 v165, v72, v70
	v_mul_f32_e32 v159, 0xbe750f2a, v191
	v_sub_f32_e32 v166, v70, v72
	v_mul_f32_e32 v161, 0xbf788fa5, v185
	v_mul_f32_e32 v169, 0x3eedf032, v191
	;; [unrolled: 1-line block ×4, first 2 shown]
	v_add_f32_e32 v194, v96, v94
	v_add_f32_e32 v195, v56, v99
	;; [unrolled: 1-line block ×3, first 2 shown]
	v_fma_f32 v56, 0xbf788fa5, v165, -v159
	v_fmamk_f32 v94, v166, 0xbe750f2a, v161
	v_fma_f32 v95, 0x3f62ad3f, v165, -v169
	v_fmamk_f32 v96, v166, 0x3eedf032, v175
	v_fma_f32 v99, 0xbf3f9e67, v165, -v187
	v_add_f32_e32 v56, v56, v57
	v_add_f32_e32 v57, v94, v93
	;; [unrolled: 1-line block ×4, first 2 shown]
	v_mul_f32_e32 v190, 0xbf3f9e67, v185
	v_add_f32_e32 v93, v99, v192
	v_mul_f32_e32 v180, 0x3f52af12, v191
	v_mul_f32_e32 v184, 0x3f116cb1, v185
	;; [unrolled: 1-line block ×4, first 2 shown]
	v_fmamk_f32 v94, v166, 0xbf29c268, v190
	v_fma_f32 v99, 0x3f116cb1, v165, -v180
	v_fmamk_f32 v100, v166, 0x3f52af12, v184
	v_fma_f32 v197, 0xbeb58ec6, v165, -v192
	v_fmamk_f32 v198, v166, 0xbf6f5d39, v193
	v_add_f32_e32 v94, v94, v97
	v_add_f32_e32 v99, v99, v98
	;; [unrolled: 1-line block ×5, first 2 shown]
	s_barrier
	buffer_gl0_inv
	s_and_saveexec_b32 s2, vcc_lo
	s_cbranch_execz .LBB0_21
; %bb.20:
	v_add_f32_e32 v69, v69, v67
	v_add_f32_e32 v68, v68, v66
	;; [unrolled: 1-line block ×4, first 2 shown]
	v_mul_f32_e32 v74, 0xbf52af12, v140
	v_mul_f32_e32 v75, 0x3f116cb1, v135
	v_add_f32_e32 v69, v77, v69
	v_add_f32_e32 v68, v76, v68
	v_mul_f32_e32 v77, 0xbe750f2a, v136
	v_sub_f32_e32 v74, v146, v74
	v_add_f32_e32 v75, v75, v145
	v_add_f32_e32 v63, v63, v69
	;; [unrolled: 1-line block ×3, first 2 shown]
	v_mul_f32_e32 v68, 0xbf29c268, v140
	v_mul_f32_e32 v69, 0xbf3f9e67, v135
	v_fma_f32 v136, 0xbf788fa5, v135, -v77
	v_add_f32_e32 v63, v65, v63
	v_add_f32_e32 v62, v64, v62
	v_mul_f32_e32 v64, 0xbe750f2a, v140
	v_fmac_f32_e32 v77, 0xbf788fa5, v135
	v_sub_f32_e32 v68, v167, v68
	v_add_f32_e32 v63, v71, v63
	v_add_f32_e32 v62, v70, v62
	v_mul_f32_e32 v70, 0xbf6f5d39, v140
	v_mul_f32_e32 v71, 0xbeb58ec6, v135
	v_fmamk_f32 v65, v148, 0xbf788fa5, v64
	v_add_f32_e32 v63, v73, v63
	v_add_f32_e32 v62, v72, v62
	v_mul_f32_e32 v72, 0xbf7e222b, v140
	v_mul_f32_e32 v73, 0x3df6dbef, v135
	;; [unrolled: 1-line block ×3, first 2 shown]
	v_fma_f32 v64, 0xbf788fa5, v148, -v64
	v_add_f32_e32 v69, v69, v163
	v_sub_f32_e32 v70, v154, v70
	v_add_f32_e32 v71, v71, v153
	v_sub_f32_e32 v72, v150, v72
	v_add_f32_e32 v73, v73, v149
	v_mul_f32_e32 v76, 0xbeedf032, v140
	v_add_f32_e32 v135, v135, v137
	v_add_f32_e32 v136, v66, v136
	;; [unrolled: 1-line block ×4, first 2 shown]
	v_sub_f32_e32 v76, v141, v76
	v_add_f32_e32 v64, v67, v68
	v_add_f32_e32 v68, v66, v69
	;; [unrolled: 1-line block ×9, first 2 shown]
	v_mul_f32_e32 v135, 0x3eedf032, v60
	v_add_f32_e32 v65, v67, v65
	v_add_f32_e32 v67, v67, v76
	;; [unrolled: 1-line block ×3, first 2 shown]
	v_mul_f32_e32 v140, 0xbf29c268, v118
	v_fmamk_f32 v58, v120, 0x3f62ad3f, v135
	v_add_f32_e32 v75, v59, v63
	v_mul_f32_e32 v141, 0x3f52af12, v128
	v_mul_f32_e32 v145, 0x3eedf032, v147
	v_fmamk_f32 v59, v130, 0xbf3f9e67, v140
	v_add_f32_e32 v58, v58, v65
	v_mul_f32_e32 v146, 0x3f52af12, v178
	v_mul_f32_e32 v147, 0xbf6f5d39, v144
	;; [unrolled: 1-line block ×4, first 2 shown]
	v_add_f32_e32 v58, v59, v58
	v_fmamk_f32 v59, v157, 0x3f116cb1, v141
	v_mul_f32_e32 v149, 0x3f7e222b, v191
	v_mul_f32_e32 v63, 0xbf52af12, v118
	;; [unrolled: 1-line block ×3, first 2 shown]
	v_add_f32_e32 v51, v51, v75
	v_add_f32_e32 v58, v59, v58
	v_fma_f32 v59, 0x3f62ad3f, v48, -v145
	v_sub_f32_e32 v63, v176, v63
	v_add_f32_e32 v65, v65, v170
	v_fmac_f32_e32 v145, 0x3f62ad3f, v48
	v_add_f32_e32 v50, v50, v76
	v_add_f32_e32 v59, v59, v136
	v_mul_f32_e32 v136, 0xbf29c268, v168
	v_add_f32_e32 v51, v53, v51
	v_add_f32_e32 v50, v52, v50
	v_fma_f32 v62, 0xbf3f9e67, v116, -v136
	v_fmac_f32_e32 v136, 0xbf3f9e67, v116
	v_add_f32_e32 v55, v55, v51
	v_add_f32_e32 v54, v54, v50
	;; [unrolled: 1-line block ×3, first 2 shown]
	v_fma_f32 v62, 0x3f116cb1, v125, -v146
	v_fmac_f32_e32 v146, 0x3f116cb1, v125
	v_add_f32_e32 v59, v62, v59
	v_fmamk_f32 v62, v174, 0xbeb58ec6, v147
	v_add_f32_e32 v58, v62, v58
	v_fma_f32 v62, 0xbeb58ec6, v139, -v148
	v_fmac_f32_e32 v148, 0xbeb58ec6, v139
	v_add_f32_e32 v62, v62, v59
	v_fmamk_f32 v59, v185, 0x3df6dbef, v150
	v_add_f32_e32 v59, v59, v58
	v_fma_f32 v58, 0x3df6dbef, v165, -v149
	v_fmac_f32_e32 v149, 0x3df6dbef, v165
	v_add_f32_e32 v58, v58, v62
	v_mul_f32_e32 v62, 0x3f7e222b, v60
	v_sub_f32_e32 v62, v155, v62
	v_add_f32_e32 v62, v62, v64
	v_mul_f32_e32 v64, 0x3df6dbef, v48
	v_add_f32_e32 v62, v63, v62
	v_add_f32_e32 v64, v64, v152
	v_mul_f32_e32 v63, 0x3e750f2a, v128
	v_add_f32_e32 v64, v64, v68
	v_sub_f32_e32 v63, v182, v63
	v_add_f32_e32 v64, v65, v64
	v_add_f32_e32 v62, v63, v62
	v_mul_f32_e32 v63, 0x3eedf032, v144
	v_mul_f32_e32 v65, 0xbf788fa5, v125
	v_sub_f32_e32 v63, v189, v63
	v_add_f32_e32 v65, v65, v179
	v_add_f32_e32 v62, v63, v62
	;; [unrolled: 1-line block ×3, first 2 shown]
	v_mul_f32_e32 v64, 0x3f62ad3f, v139
	v_mul_f32_e32 v65, 0xbf6f5d39, v166
	v_add_f32_e32 v64, v64, v188
	v_sub_f32_e32 v65, v193, v65
	v_add_f32_e32 v64, v64, v63
	v_mul_f32_e32 v63, 0xbeb58ec6, v165
	v_add_f32_e32 v68, v63, v192
	v_add_f32_e32 v63, v65, v62
	v_mul_f32_e32 v65, 0x3f6f5d39, v118
	v_add_f32_e32 v62, v68, v64
	v_mul_f32_e32 v64, 0xbe750f2a, v60
	v_sub_f32_e32 v65, v156, v65
	v_mul_f32_e32 v68, 0xbf788fa5, v48
	v_sub_f32_e32 v64, v131, v64
	v_add_f32_e32 v68, v68, v129
	v_add_f32_e32 v64, v64, v71
	v_mul_f32_e32 v71, 0xbf52af12, v144
	v_add_f32_e32 v64, v65, v64
	v_mul_f32_e32 v65, 0x3eedf032, v128
	v_sub_f32_e32 v71, v183, v71
	v_sub_f32_e32 v65, v172, v65
	v_add_f32_e32 v64, v65, v64
	v_add_f32_e32 v65, v68, v72
	v_mul_f32_e32 v68, 0xbeb58ec6, v116
	v_add_f32_e32 v64, v71, v64
	v_mul_f32_e32 v71, 0xbf29c268, v166
	v_add_f32_e32 v68, v68, v151
	v_sub_f32_e32 v71, v190, v71
	v_add_f32_e32 v65, v68, v65
	v_mul_f32_e32 v68, 0x3f62ad3f, v125
	v_add_f32_e32 v68, v68, v171
	v_add_f32_e32 v65, v68, v65
	v_mul_f32_e32 v68, 0x3f116cb1, v139
	v_add_f32_e32 v68, v68, v181
	;; [unrolled: 3-line block ×3, first 2 shown]
	v_add_f32_e32 v65, v71, v64
	v_fma_f32 v71, 0xbf3f9e67, v130, -v140
	v_add_f32_e32 v64, v72, v68
	v_add_f32_e32 v72, v145, v77
	v_mul_f32_e32 v77, 0x3f29c268, v60
	v_fma_f32 v68, 0x3f62ad3f, v120, -v135
	v_mul_f32_e32 v120, 0xbf3f9e67, v48
	v_add_f32_e32 v72, v136, v72
	v_sub_f32_e32 v77, v124, v77
	v_add_f32_e32 v68, v68, v137
	v_add_f32_e32 v120, v120, v121
	;; [unrolled: 1-line block ×4, first 2 shown]
	v_mul_f32_e32 v77, 0x3eedf032, v118
	v_add_f32_e32 v70, v120, v70
	v_mul_f32_e32 v120, 0x3f62ad3f, v116
	v_add_f32_e32 v68, v71, v68
	v_fma_f32 v71, 0x3f116cb1, v157, -v141
	v_sub_f32_e32 v77, v138, v77
	v_add_f32_e32 v72, v148, v72
	v_add_f32_e32 v120, v120, v132
	;; [unrolled: 1-line block ×4, first 2 shown]
	v_mul_f32_e32 v77, 0xbf7e222b, v128
	v_add_f32_e32 v70, v120, v70
	v_mul_f32_e32 v120, 0x3df6dbef, v125
	v_fma_f32 v71, 0xbeb58ec6, v174, -v147
	v_sub_f32_e32 v77, v162, v77
	v_add_f32_e32 v120, v120, v158
	v_add_f32_e32 v68, v71, v68
	v_fma_f32 v71, 0x3df6dbef, v185, -v150
	v_add_f32_e32 v69, v77, v69
	v_mul_f32_e32 v77, 0x3e750f2a, v144
	v_add_f32_e32 v70, v120, v70
	v_mul_f32_e32 v120, 0xbf6f5d39, v60
	v_mul_f32_e32 v60, 0xbf52af12, v60
	v_sub_f32_e32 v77, v177, v77
	v_sub_f32_e32 v117, v117, v120
	;; [unrolled: 1-line block ×3, first 2 shown]
	v_mul_f32_e32 v61, 0x3df6dbef, v116
	v_add_f32_e32 v69, v77, v69
	v_mul_f32_e32 v77, 0xbf788fa5, v139
	v_add_f32_e32 v73, v117, v73
	v_mul_f32_e32 v117, 0xbeb58ec6, v48
	v_mul_f32_e32 v48, 0x3f116cb1, v48
	v_add_f32_e32 v61, v61, v115
	v_add_f32_e32 v77, v77, v173
	v_mul_f32_e32 v120, 0x3f52af12, v166
	v_add_f32_e32 v114, v117, v114
	v_add_f32_e32 v48, v48, v49
	;; [unrolled: 1-line block ×4, first 2 shown]
	v_mul_f32_e32 v77, 0xbe750f2a, v118
	v_add_f32_e32 v74, v114, v74
	v_mul_f32_e32 v114, 0xbf788fa5, v116
	v_mul_f32_e32 v60, 0xbf7e222b, v118
	v_add_f32_e32 v48, v48, v66
	v_sub_f32_e32 v77, v126, v77
	v_mul_f32_e32 v66, 0xbf6f5d39, v128
	v_add_f32_e32 v114, v114, v122
	v_sub_f32_e32 v60, v119, v60
	v_add_f32_e32 v48, v61, v48
	v_add_f32_e32 v73, v77, v73
	v_mul_f32_e32 v77, 0x3f29c268, v128
	v_add_f32_e32 v74, v114, v74
	v_mul_f32_e32 v114, 0xbf3f9e67, v125
	;; [unrolled: 2-line block ×3, first 2 shown]
	v_sub_f32_e32 v77, v142, v77
	v_sub_f32_e32 v66, v127, v66
	v_add_f32_e32 v114, v114, v134
	v_mul_f32_e32 v116, 0xbf3f9e67, v139
	v_add_f32_e32 v60, v60, v123
	v_add_f32_e32 v73, v77, v73
	v_mul_f32_e32 v77, 0x3f7e222b, v144
	v_add_f32_e32 v74, v114, v74
	v_add_f32_e32 v66, v66, v49
	v_mul_f32_e32 v118, 0xbf788fa5, v165
	v_mul_f32_e32 v119, 0xbe750f2a, v166
	v_sub_f32_e32 v77, v164, v77
	v_add_f32_e32 v48, v60, v48
	v_add_f32_e32 v60, v116, v133
	v_mul_f32_e32 v114, 0x3eedf032, v166
	v_mul_f32_e32 v67, 0x3f62ad3f, v165
	v_add_f32_e32 v73, v77, v73
	v_mul_f32_e32 v77, 0x3df6dbef, v139
	v_mul_f32_e32 v117, 0x3f116cb1, v165
	v_sub_f32_e32 v52, v161, v119
	v_add_f32_e32 v48, v60, v48
	v_add_f32_e32 v53, v118, v159
	;; [unrolled: 1-line block ×3, first 2 shown]
	v_mov_b32_e32 v60, 3
	v_sub_f32_e32 v114, v175, v114
	v_add_f32_e32 v115, v67, v169
	v_sub_f32_e32 v120, v184, v120
	v_add_f32_e32 v74, v77, v74
	v_mul_f32_e32 v77, 0xbf29c268, v144
	v_add_f32_e32 v117, v117, v180
	v_add_f32_e32 v50, v53, v48
	;; [unrolled: 1-line block ×4, first 2 shown]
	v_sub_f32_e32 v77, v143, v77
	v_add_f32_e32 v61, v120, v69
	v_add_f32_e32 v49, v71, v68
	v_add_f32_e32 v48, v149, v72
	v_add_f32_e32 v66, v77, v66
	v_add_f32_e32 v51, v52, v66
	v_add_f32_e32 v52, v91, v54
	v_lshlrev_b32_sdwa v54, v60, v103 dst_sel:DWORD dst_unused:UNUSED_PAD src0_sel:DWORD src1_sel:WORD_0
	v_add_f32_e32 v66, v115, v74
	v_add_f32_e32 v60, v117, v70
	ds_write2_b64 v54, v[52:53], v[50:51] offset1:1
	ds_write2_b64 v54, v[66:67], v[64:65] offset0:2 offset1:3
	ds_write2_b64 v54, v[60:61], v[62:63] offset0:4 offset1:5
	;; [unrolled: 1-line block ×5, first 2 shown]
	ds_write_b64 v54, v[56:57] offset:96
.LBB0_21:
	s_or_b32 exec_lo, exec_lo, s2
	v_add_nc_u32_e32 v48, 0x1800, v101
	v_add_nc_u32_e32 v49, 0xa00, v101
	;; [unrolled: 1-line block ×3, first 2 shown]
	s_waitcnt lgkmcnt(0)
	s_barrier
	buffer_gl0_inv
	ds_read2_b64 v[52:55], v101 offset1:182
	ds_read2_b64 v[62:65], v48 offset0:51 offset1:233
	ds_read2_b64 v[48:51], v49 offset0:44 offset1:226
	;; [unrolled: 1-line block ×3, first 2 shown]
	s_and_saveexec_b32 s2, s0
	s_cbranch_execz .LBB0_23
; %bb.22:
	ds_read_b64 v[97:98], v101 offset:5824
	ds_read_b64 v[99:100], v101 offset:12376
.LBB0_23:
	s_or_b32 exec_lo, exec_lo, s2
	s_waitcnt lgkmcnt(2)
	v_mul_f32_e32 v66, v88, v63
	v_mul_f32_e32 v67, v88, v62
	;; [unrolled: 1-line block ×4, first 2 shown]
	s_waitcnt lgkmcnt(0)
	v_mul_f32_e32 v70, v80, v100
	v_fmac_f32_e32 v66, v87, v62
	v_fma_f32 v62, v87, v63, -v67
	v_fmac_f32_e32 v68, v85, v64
	v_mul_f32_e32 v63, v84, v59
	v_mul_f32_e32 v64, v84, v58
	v_fma_f32 v65, v85, v65, -v69
	v_mul_f32_e32 v69, v82, v60
	v_mul_f32_e32 v67, v82, v61
	v_fmac_f32_e32 v63, v83, v58
	v_fma_f32 v64, v83, v59, -v64
	v_sub_f32_e32 v58, v52, v66
	v_fma_f32 v69, v81, v61, -v69
	v_mul_f32_e32 v61, v80, v99
	v_fmac_f32_e32 v67, v81, v60
	v_sub_f32_e32 v59, v53, v62
	v_fmac_f32_e32 v70, v79, v99
	v_sub_f32_e32 v60, v54, v68
	v_fma_f32 v68, v79, v100, -v61
	v_sub_f32_e32 v62, v48, v63
	v_sub_f32_e32 v63, v49, v64
	;; [unrolled: 1-line block ×5, first 2 shown]
	v_fma_f32 v52, v52, 2.0, -v58
	v_fma_f32 v53, v53, 2.0, -v59
	;; [unrolled: 1-line block ×4, first 2 shown]
	v_sub_f32_e32 v48, v97, v70
	v_sub_f32_e32 v49, v98, v68
	v_fma_f32 v54, v54, 2.0, -v60
	v_fma_f32 v55, v55, 2.0, -v61
	;; [unrolled: 1-line block ×4, first 2 shown]
	s_barrier
	buffer_gl0_inv
	ds_write2_b64 v109, v[52:53], v[58:59] offset1:13
	ds_write2_b64 v108, v[54:55], v[60:61] offset1:13
	;; [unrolled: 1-line block ×4, first 2 shown]
	s_and_saveexec_b32 s2, s0
	s_cbranch_execz .LBB0_25
; %bb.24:
	v_mov_b32_e32 v52, 3
	v_fma_f32 v51, v98, 2.0, -v49
	v_fma_f32 v50, v97, 2.0, -v48
	v_lshlrev_b32_sdwa v52, v52, v105 dst_sel:DWORD dst_unused:UNUSED_PAD src0_sel:DWORD src1_sel:WORD_0
	ds_write2_b64 v52, v[50:51], v[48:49] offset1:13
.LBB0_25:
	s_or_b32 exec_lo, exec_lo, s2
	v_add_nc_u32_e32 v50, 0xa00, v101
	v_add_nc_u32_e32 v58, 0x2000, v101
	;; [unrolled: 1-line block ×3, first 2 shown]
	s_waitcnt lgkmcnt(0)
	s_barrier
	buffer_gl0_inv
	ds_read_b64 v[54:55], v101 offset:11648
	ds_read2_b64 v[50:53], v50 offset0:44 offset1:226
	ds_read2_b64 v[58:61], v58 offset0:68 offset1:250
	;; [unrolled: 1-line block ×3, first 2 shown]
	ds_read2_b64 v[66:69], v101 offset1:182
	s_waitcnt lgkmcnt(0)
	s_barrier
	buffer_gl0_inv
	v_mul_f32_e32 v71, v21, v53
	v_mul_f32_e32 v21, v21, v52
	;; [unrolled: 1-line block ×8, first 2 shown]
	v_fmac_f32_e32 v70, v14, v54
	v_fma_f32 v54, v14, v55, -v15
	v_fmac_f32_e32 v71, v20, v52
	v_fma_f32 v15, v20, v53, -v21
	;; [unrolled: 2-line block ×3, first 2 shown]
	v_mul_f32_e32 v73, v17, v63
	v_mul_f32_e32 v17, v17, v62
	;; [unrolled: 1-line block ×4, first 2 shown]
	v_fmac_f32_e32 v74, v18, v60
	v_fma_f32 v23, v18, v61, -v19
	v_add_f32_e32 v14, v71, v72
	v_add_f32_e32 v18, v15, v20
	v_fmac_f32_e32 v73, v16, v62
	v_fma_f32 v21, v16, v63, -v17
	v_fmac_f32_e32 v75, v12, v64
	v_fma_f32 v12, v12, v65, -v13
	v_add_f32_e32 v13, v66, v71
	v_sub_f32_e32 v17, v15, v20
	v_fma_f32 v14, -0.5, v14, v66
	v_add_f32_e32 v19, v67, v15
	v_sub_f32_e32 v22, v71, v72
	v_fma_f32 v15, -0.5, v18, v67
	v_add_f32_e32 v16, v13, v72
	v_fmamk_f32 v18, v17, 0xbf5db3d7, v14
	v_fmac_f32_e32 v14, 0x3f5db3d7, v17
	v_add_f32_e32 v17, v19, v20
	v_add_f32_e32 v13, v73, v74
	v_fmamk_f32 v19, v22, 0x3f5db3d7, v15
	v_fmac_f32_e32 v15, 0xbf5db3d7, v22
	v_add_f32_e32 v22, v21, v23
	v_add_f32_e32 v20, v68, v73
	v_fma_f32 v68, -0.5, v13, v68
	v_sub_f32_e32 v13, v21, v23
	v_add_f32_e32 v21, v69, v21
	v_fmac_f32_e32 v69, -0.5, v22
	v_sub_f32_e32 v52, v73, v74
	v_add_f32_e32 v53, v50, v75
	v_fmamk_f32 v22, v13, 0xbf5db3d7, v68
	v_fmac_f32_e32 v68, 0x3f5db3d7, v13
	v_add_f32_e32 v21, v21, v23
	v_add_f32_e32 v13, v75, v70
	v_fmamk_f32 v23, v52, 0x3f5db3d7, v69
	v_fmac_f32_e32 v69, 0xbf5db3d7, v52
	v_add_f32_e32 v52, v12, v54
	v_add_f32_e32 v55, v51, v12
	v_fma_f32 v50, -0.5, v13, v50
	v_sub_f32_e32 v13, v12, v54
	v_sub_f32_e32 v58, v75, v70
	v_fmac_f32_e32 v51, -0.5, v52
	v_add_f32_e32 v20, v20, v74
	v_add_f32_e32 v52, v53, v70
	v_fmamk_f32 v12, v13, 0xbf5db3d7, v50
	v_fmac_f32_e32 v50, 0x3f5db3d7, v13
	v_add_f32_e32 v53, v55, v54
	v_fmamk_f32 v13, v58, 0x3f5db3d7, v51
	v_fmac_f32_e32 v51, 0xbf5db3d7, v58
	ds_write2_b64 v112, v[16:17], v[18:19] offset1:26
	ds_write_b64 v112, v[14:15] offset:416
	ds_write2_b64 v111, v[20:21], v[22:23] offset1:26
	ds_write_b64 v111, v[68:69] offset:416
	;; [unrolled: 2-line block ×3, first 2 shown]
	v_add_nc_u32_e32 v14, 0xe00, v101
	v_add_nc_u32_e32 v15, 0x1d00, v101
	s_waitcnt lgkmcnt(0)
	s_barrier
	buffer_gl0_inv
	ds_read2_b64 v[16:19], v101 offset1:234
	ds_read2_b64 v[58:61], v14 offset0:20 offset1:254
	ds_read2_b64 v[20:23], v15 offset0:8 offset1:242
	ds_read_b64 v[52:53], v101 offset:11232
	s_and_saveexec_b32 s0, s1
	s_cbranch_execz .LBB0_27
; %bb.26:
	v_add_nc_u32_e32 v12, 0x1400, v101
	v_add_nc_u32_e32 v13, 0x2280, v101
	;; [unrolled: 1-line block ×3, first 2 shown]
	ds_read2_b64 v[48:51], v12 offset0:10 offset1:244
	ds_read2_b64 v[54:57], v13 offset0:14 offset1:248
	;; [unrolled: 1-line block ×3, first 2 shown]
	ds_read_b64 v[89:90], v101 offset:12688
	s_waitcnt lgkmcnt(3)
	v_mov_b32_e32 v93, v50
	v_mov_b32_e32 v94, v51
	s_waitcnt lgkmcnt(2)
	v_mov_b32_e32 v95, v54
	v_mov_b32_e32 v96, v55
	;; [unrolled: 3-line block ×3, first 2 shown]
.LBB0_27:
	s_or_b32 exec_lo, exec_lo, s0
	s_waitcnt lgkmcnt(3)
	v_mul_f32_e32 v14, v33, v19
	v_mul_f32_e32 v15, v33, v18
	s_waitcnt lgkmcnt(2)
	v_mul_f32_e32 v33, v35, v59
	v_mul_f32_e32 v35, v35, v58
	s_waitcnt lgkmcnt(0)
	v_fmac_f32_e32 v14, v32, v18
	v_fma_f32 v15, v32, v19, -v15
	v_mul_f32_e32 v18, v29, v61
	v_mul_f32_e32 v19, v29, v60
	;; [unrolled: 1-line block ×3, first 2 shown]
	v_fmac_f32_e32 v33, v34, v58
	v_fma_f32 v32, v34, v59, -v35
	v_fmac_f32_e32 v18, v28, v60
	v_fma_f32 v19, v28, v61, -v19
	v_fmac_f32_e32 v29, v30, v20
	v_mul_f32_e32 v28, v27, v53
	v_mul_f32_e32 v27, v27, v52
	;; [unrolled: 1-line block ×5, first 2 shown]
	v_fmac_f32_e32 v28, v26, v52
	v_fma_f32 v26, v26, v53, -v27
	v_fma_f32 v20, v30, v21, -v20
	v_fmac_f32_e32 v31, v24, v22
	v_fma_f32 v21, v24, v23, -v25
	v_add_f32_e32 v22, v14, v28
	v_add_f32_e32 v23, v15, v26
	v_sub_f32_e32 v14, v14, v28
	v_add_f32_e32 v24, v33, v31
	v_add_f32_e32 v25, v32, v21
	v_sub_f32_e32 v15, v15, v26
	v_sub_f32_e32 v26, v33, v31
	;; [unrolled: 1-line block ×3, first 2 shown]
	v_add_f32_e32 v27, v18, v29
	v_add_f32_e32 v28, v19, v20
	v_sub_f32_e32 v18, v29, v18
	v_sub_f32_e32 v19, v20, v19
	v_add_f32_e32 v20, v24, v22
	v_add_f32_e32 v29, v25, v23
	v_sub_f32_e32 v30, v24, v22
	v_sub_f32_e32 v31, v25, v23
	v_sub_f32_e32 v22, v22, v27
	v_sub_f32_e32 v23, v23, v28
	v_sub_f32_e32 v24, v27, v24
	v_sub_f32_e32 v25, v28, v25
	v_add_f32_e32 v32, v18, v26
	v_add_f32_e32 v33, v19, v21
	v_sub_f32_e32 v34, v18, v26
	v_sub_f32_e32 v35, v19, v21
	v_add_f32_e32 v20, v27, v20
	v_add_f32_e32 v27, v28, v29
	v_sub_f32_e32 v26, v26, v14
	v_sub_f32_e32 v21, v21, v15
	;; [unrolled: 1-line block ×4, first 2 shown]
	v_add_f32_e32 v28, v32, v14
	v_add_f32_e32 v29, v33, v15
	;; [unrolled: 1-line block ×4, first 2 shown]
	v_mul_f32_e32 v16, 0x3f4a47b2, v22
	v_mul_f32_e32 v17, 0x3f4a47b2, v23
	v_mul_f32_e32 v22, 0x3d64c772, v24
	v_mul_f32_e32 v23, 0x3d64c772, v25
	v_mul_f32_e32 v32, 0x3f08b237, v34
	v_mul_f32_e32 v33, 0x3f08b237, v35
	v_mul_f32_e32 v34, 0xbf5ff5aa, v26
	v_mul_f32_e32 v35, 0xbf5ff5aa, v21
	v_fmamk_f32 v20, v20, 0xbf955555, v14
	v_fmamk_f32 v27, v27, 0xbf955555, v15
	;; [unrolled: 1-line block ×4, first 2 shown]
	v_fma_f32 v22, 0x3f3bfb3b, v30, -v22
	v_fma_f32 v23, 0x3f3bfb3b, v31, -v23
	;; [unrolled: 1-line block ×4, first 2 shown]
	v_fmamk_f32 v30, v18, 0xbeae86e6, v32
	v_fmamk_f32 v31, v19, 0xbeae86e6, v33
	v_fma_f32 v26, 0xbf5ff5aa, v26, -v32
	v_fma_f32 v32, 0xbf5ff5aa, v21, -v33
	;; [unrolled: 1-line block ×4, first 2 shown]
	v_add_f32_e32 v35, v24, v20
	v_add_f32_e32 v52, v25, v27
	v_fmac_f32_e32 v30, 0xbee1c552, v28
	v_fmac_f32_e32 v31, 0xbee1c552, v29
	v_add_f32_e32 v22, v22, v20
	v_add_f32_e32 v23, v23, v27
	;; [unrolled: 1-line block ×4, first 2 shown]
	v_fmac_f32_e32 v26, 0xbee1c552, v28
	v_fmac_f32_e32 v34, 0xbee1c552, v29
	;; [unrolled: 1-line block ×4, first 2 shown]
	v_add_f32_e32 v16, v31, v35
	v_sub_f32_e32 v17, v52, v30
	v_add_f32_e32 v18, v34, v24
	v_sub_f32_e32 v19, v25, v33
	v_sub_f32_e32 v20, v22, v32
	v_add_f32_e32 v21, v26, v23
	v_add_f32_e32 v22, v32, v22
	v_sub_f32_e32 v23, v23, v26
	v_sub_f32_e32 v24, v24, v34
	v_add_f32_e32 v25, v33, v25
	v_add_nc_u32_e32 v28, 0x800, v113
	v_sub_f32_e32 v26, v35, v31
	v_add_f32_e32 v27, v30, v52
	s_barrier
	buffer_gl0_inv
	ds_write2_b64 v113, v[14:15], v[16:17] offset1:78
	ds_write2_b64 v113, v[18:19], v[20:21] offset0:156 offset1:234
	ds_write2_b64 v28, v[22:23], v[24:25] offset0:56 offset1:134
	ds_write_b64 v113, v[26:27] offset:3744
	s_and_saveexec_b32 s0, s1
	s_cbranch_execz .LBB0_29
; %bb.28:
	v_mul_f32_e32 v14, v9, v51
	v_mul_f32_e32 v17, v11, v49
	;; [unrolled: 1-line block ×10, first 2 shown]
	v_fmac_f32_e32 v18, v4, v56
	v_fmac_f32_e32 v14, v8, v50
	;; [unrolled: 1-line block ×3, first 2 shown]
	v_fma_f32 v6, v6, v90, -v7
	v_fma_f32 v8, v8, v51, -v9
	v_mul_f32_e32 v1, v1, v93
	v_mul_f32_e32 v3, v3, v95
	v_fma_f32 v4, v4, v57, -v5
	v_fma_f32 v5, v10, v49, -v11
	v_fmac_f32_e32 v15, v2, v95
	v_fmac_f32_e32 v16, v0, v93
	;; [unrolled: 1-line block ×3, first 2 shown]
	v_add_f32_e32 v10, v6, v8
	v_fma_f32 v0, v0, v94, -v1
	v_fma_f32 v2, v2, v96, -v3
	v_add_f32_e32 v11, v4, v5
	v_sub_f32_e32 v21, v17, v18
	v_sub_f32_e32 v22, v14, v19
	v_add_f32_e32 v14, v19, v14
	v_add_f32_e32 v1, v0, v2
	;; [unrolled: 1-line block ×4, first 2 shown]
	v_sub_f32_e32 v20, v15, v16
	v_add_f32_e32 v15, v16, v15
	v_sub_f32_e32 v24, v10, v1
	v_add_f32_e32 v3, v1, v3
	v_sub_f32_e32 v18, v1, v11
	v_sub_f32_e32 v2, v2, v0
	;; [unrolled: 1-line block ×3, first 2 shown]
	v_mul_f32_e32 v19, 0x3f4a47b2, v24
	v_add_f32_e32 v1, v13, v3
	v_add_f32_e32 v13, v17, v14
	v_sub_f32_e32 v24, v14, v15
	v_sub_f32_e32 v23, v20, v21
	v_add_f32_e32 v9, v20, v21
	v_fmamk_f32 v25, v3, 0xbf955555, v1
	v_add_f32_e32 v3, v15, v13
	v_sub_f32_e32 v6, v8, v6
	v_sub_f32_e32 v21, v21, v22
	v_mul_f32_e32 v16, 0x3d64c772, v18
	v_fmamk_f32 v18, v18, 0x3d64c772, v19
	v_mul_f32_e32 v5, 0x3f4a47b2, v24
	v_sub_f32_e32 v13, v15, v17
	v_add_f32_e32 v0, v12, v3
	v_sub_f32_e32 v8, v2, v4
	v_sub_f32_e32 v10, v11, v10
	v_sub_f32_e32 v11, v17, v14
	v_sub_f32_e32 v7, v22, v20
	v_mul_f32_e32 v23, 0x3f08b237, v23
	v_sub_f32_e32 v24, v6, v2
	v_add_f32_e32 v2, v2, v4
	v_mul_f32_e32 v26, 0xbf5ff5aa, v21
	v_sub_f32_e32 v4, v4, v6
	v_add_f32_e32 v12, v18, v25
	v_fmamk_f32 v15, v13, 0x3d64c772, v5
	v_fmamk_f32 v18, v3, 0xbf955555, v0
	v_mul_f32_e32 v8, 0x3f08b237, v8
	v_mul_f32_e32 v13, 0x3d64c772, v13
	v_fma_f32 v5, 0xbf3bfb3b, v11, -v5
	v_fmamk_f32 v20, v7, 0xbeae86e6, v23
	v_fma_f32 v14, 0x3eae86e6, v7, -v26
	v_mul_f32_e32 v7, 0xbf5ff5aa, v4
	v_add_f32_e32 v9, v9, v22
	v_fmamk_f32 v22, v24, 0xbeae86e6, v8
	v_add_f32_e32 v2, v2, v6
	v_fma_f32 v6, 0xbf3bfb3b, v10, -v19
	v_add_f32_e32 v19, v5, v18
	v_fma_f32 v5, 0x3f3bfb3b, v10, -v16
	v_fma_f32 v10, 0xbf5ff5aa, v21, -v23
	;; [unrolled: 1-line block ×4, first 2 shown]
	v_mov_b32_e32 v13, 3
	v_fma_f32 v24, 0x3eae86e6, v24, -v7
	v_fmac_f32_e32 v20, 0xbee1c552, v9
	v_add_f32_e32 v15, v15, v18
	v_fmac_f32_e32 v22, 0xbee1c552, v2
	v_fmac_f32_e32 v14, 0xbee1c552, v9
	v_add_f32_e32 v17, v6, v25
	v_add_f32_e32 v11, v5, v25
	v_fmac_f32_e32 v10, 0xbee1c552, v9
	v_lshlrev_b32_sdwa v16, v13, v104 dst_sel:DWORD dst_unused:UNUSED_PAD src0_sel:DWORD src1_sel:WORD_0
	v_fmac_f32_e32 v24, 0xbee1c552, v2
	v_fmac_f32_e32 v8, 0xbee1c552, v2
	v_add_f32_e32 v2, v4, v18
	v_add_f32_e32 v3, v20, v12
	;; [unrolled: 1-line block ×3, first 2 shown]
	v_sub_f32_e32 v7, v11, v10
	v_add_f32_e32 v9, v10, v11
	v_sub_f32_e32 v11, v17, v14
	v_sub_f32_e32 v13, v12, v20
	v_add_f32_e32 v12, v22, v15
	v_add_nc_u32_e32 v14, 0x2000, v16
	v_add_f32_e32 v6, v8, v2
	v_sub_f32_e32 v8, v2, v8
	v_add_f32_e32 v10, v24, v19
	v_add_nc_u32_e32 v17, 0x2400, v16
	v_sub_f32_e32 v4, v19, v24
	v_add_nc_u32_e32 v18, 0x2800, v16
	v_sub_f32_e32 v2, v15, v22
	ds_write2_b64 v14, v[0:1], v[12:13] offset0:68 offset1:146
	ds_write2_b64 v17, v[10:11], v[8:9] offset0:96 offset1:174
	;; [unrolled: 1-line block ×3, first 2 shown]
	ds_write_b64 v16, v[2:3] offset:12480
.LBB0_29:
	s_or_b32 exec_lo, exec_lo, s0
	v_add_nc_u32_e32 v19, 0xa00, v101
	v_add_nc_u32_e32 v0, 0x2000, v101
	;; [unrolled: 1-line block ×3, first 2 shown]
	s_waitcnt lgkmcnt(0)
	s_barrier
	buffer_gl0_inv
	ds_read_b64 v[17:18], v101 offset:11648
	ds_read2_b64 v[1:4], v19 offset0:44 offset1:226
	ds_read2_b64 v[5:8], v0 offset0:68 offset1:250
	;; [unrolled: 1-line block ×3, first 2 shown]
	ds_read2_b64 v[13:16], v101 offset1:182
	s_waitcnt lgkmcnt(3)
	v_mul_f32_e32 v23, v37, v4
	v_mul_f32_e32 v24, v37, v3
	s_waitcnt lgkmcnt(2)
	v_mul_f32_e32 v25, v39, v6
	v_mul_f32_e32 v26, v39, v5
	;; [unrolled: 1-line block ×3, first 2 shown]
	v_fmac_f32_e32 v23, v36, v3
	v_fma_f32 v4, v36, v4, -v24
	v_fmac_f32_e32 v25, v38, v5
	v_fma_f32 v6, v38, v6, -v26
	v_mul_f32_e32 v21, v43, v18
	s_waitcnt lgkmcnt(1)
	v_mul_f32_e32 v27, v45, v10
	v_mul_f32_e32 v28, v45, v9
	;; [unrolled: 1-line block ×4, first 2 shown]
	v_fmac_f32_e32 v29, v46, v7
	v_add_f32_e32 v3, v23, v25
	v_add_f32_e32 v7, v4, v6
	v_mul_f32_e32 v22, v43, v17
	v_mul_f32_e32 v32, v41, v11
	v_fmac_f32_e32 v21, v42, v17
	v_fmac_f32_e32 v27, v44, v9
	v_fma_f32 v10, v44, v10, -v28
	v_fma_f32 v17, v46, v8, -v30
	v_fmac_f32_e32 v31, v40, v11
	v_sub_f32_e32 v8, v4, v6
	s_waitcnt lgkmcnt(0)
	v_fma_f32 v3, -0.5, v3, v13
	v_add_f32_e32 v9, v14, v4
	v_sub_f32_e32 v11, v23, v25
	v_fma_f32 v4, -0.5, v7, v14
	v_fma_f32 v18, v42, v18, -v22
	v_fmamk_f32 v7, v8, 0xbf5db3d7, v3
	v_fmac_f32_e32 v3, 0x3f5db3d7, v8
	v_add_f32_e32 v6, v9, v6
	v_add_f32_e32 v9, v27, v29
	v_fmamk_f32 v8, v11, 0x3f5db3d7, v4
	v_fmac_f32_e32 v4, 0xbf5db3d7, v11
	v_add_f32_e32 v11, v10, v17
	v_fma_f32 v22, v40, v12, -v32
	v_add_f32_e32 v5, v13, v23
	v_add_f32_e32 v12, v15, v27
	v_fma_f32 v15, -0.5, v9, v15
	v_sub_f32_e32 v13, v10, v17
	v_add_f32_e32 v10, v16, v10
	v_fmac_f32_e32 v16, -0.5, v11
	v_sub_f32_e32 v14, v27, v29
	v_add_f32_e32 v9, v12, v29
	v_fmamk_f32 v11, v13, 0xbf5db3d7, v15
	v_fmac_f32_e32 v15, 0x3f5db3d7, v13
	v_add_f32_e32 v13, v31, v21
	v_fmamk_f32 v12, v14, 0x3f5db3d7, v16
	v_fmac_f32_e32 v16, 0xbf5db3d7, v14
	v_add_f32_e32 v14, v22, v18
	v_add_f32_e32 v10, v10, v17
	;; [unrolled: 1-line block ×3, first 2 shown]
	v_sub_f32_e32 v23, v22, v18
	v_add_f32_e32 v22, v2, v22
	v_fma_f32 v1, -0.5, v13, v1
	v_fmac_f32_e32 v2, -0.5, v14
	v_sub_f32_e32 v24, v31, v21
	v_add_f32_e32 v5, v5, v25
	v_add_f32_e32 v13, v17, v21
	v_add_f32_e32 v14, v22, v18
	v_fmamk_f32 v17, v23, 0xbf5db3d7, v1
	v_fmamk_f32 v18, v24, 0x3f5db3d7, v2
	v_fmac_f32_e32 v1, 0x3f5db3d7, v23
	v_fmac_f32_e32 v2, 0xbf5db3d7, v24
	ds_write2_b64 v101, v[5:6], v[9:10] offset1:182
	ds_write2_b64 v0, v[3:4], v[15:16] offset0:68 offset1:250
	ds_write2_b64 v19, v[13:14], v[7:8] offset0:44 offset1:226
	;; [unrolled: 1-line block ×3, first 2 shown]
	ds_write_b64 v101, v[1:2] offset:11648
	s_waitcnt lgkmcnt(0)
	s_barrier
	buffer_gl0_inv
	s_and_b32 exec_lo, exec_lo, vcc_lo
	s_cbranch_execz .LBB0_31
; %bb.30:
	v_add_co_u32 v7, s0, s14, v101
	v_add_co_ci_u32_e64 v8, null, s15, 0, s0
	global_load_dwordx2 v[25:26], v101, s[14:15]
	v_add_co_u32 v1, vcc_lo, 0x800, v7
	s_clause 0x1
	global_load_dwordx2 v[27:28], v101, s[14:15] offset:1008
	global_load_dwordx2 v[29:30], v101, s[14:15] offset:2016
	v_add_co_ci_u32_e32 v2, vcc_lo, 0, v8, vcc_lo
	v_add_co_u32 v3, vcc_lo, 0x1000, v7
	v_add_co_ci_u32_e32 v4, vcc_lo, 0, v8, vcc_lo
	v_add_co_u32 v5, vcc_lo, 0x1800, v7
	v_add_co_ci_u32_e32 v6, vcc_lo, 0, v8, vcc_lo
	s_clause 0x5
	global_load_dwordx2 v[31:32], v[1:2], off offset:976
	global_load_dwordx2 v[33:34], v[1:2], off offset:1984
	;; [unrolled: 1-line block ×6, first 2 shown]
	v_add_co_u32 v1, vcc_lo, 0x2000, v7
	v_add_co_ci_u32_e32 v2, vcc_lo, 0, v8, vcc_lo
	v_add_co_u32 v43, vcc_lo, 0x2800, v7
	v_add_co_ci_u32_e32 v44, vcc_lo, 0, v8, vcc_lo
	s_clause 0x2
	global_load_dwordx2 v[45:46], v[1:2], off offset:880
	global_load_dwordx2 v[47:48], v[1:2], off offset:1888
	global_load_dwordx2 v[49:50], v[43:44], off offset:848
	v_mad_u64_u32 v[5:6], null, s6, v78, 0
	v_mad_u64_u32 v[7:8], null, s4, v102, 0
	ds_read_b64 v[51:52], v101
	v_add_nc_u32_e32 v13, 0x1000, v101
	v_add_nc_u32_e32 v17, 0x1800, v101
	s_mul_i32 s2, s5, 0x3f0
	v_mov_b32_e32 v1, v6
	s_mul_hi_u32 s3, s4, 0x3f0
	v_mov_b32_e32 v2, v8
	ds_read2_b64 v[13:16], v13 offset0:118 offset1:244
	ds_read2_b64 v[17:20], v17 offset0:114 offset1:240
	s_mulk_i32 s4, 0x3f0
	s_add_i32 s3, s3, s2
	v_mad_u64_u32 v[3:4], null, s7, v78, v[1:2]
	s_mov_b32 s0, 0x14014014
	s_mov_b32 s1, 0x3f440140
	v_mov_b32_e32 v6, v3
	v_mad_u64_u32 v[8:9], null, s5, v102, v[2:3]
	ds_read2_b64 v[1:4], v101 offset0:126 offset1:252
	v_add_nc_u32_e32 v9, 0x800, v101
	v_lshlrev_b64 v[5:6], 3, v[5:6]
	v_lshlrev_b64 v[7:8], 3, v[7:8]
	ds_read2_b64 v[9:12], v9 offset0:122 offset1:248
	v_add_co_u32 v5, vcc_lo, s12, v5
	v_add_co_ci_u32_e32 v6, vcc_lo, s13, v6, vcc_lo
	v_add_co_u32 v53, vcc_lo, v5, v7
	v_add_co_ci_u32_e32 v54, vcc_lo, v6, v8, vcc_lo
	ds_read2_b64 v[5:8], v0 offset0:110 offset1:236
	v_add_nc_u32_e32 v0, 0x2800, v101
	v_add_co_u32 v55, vcc_lo, v53, s4
	v_add_co_ci_u32_e32 v56, vcc_lo, s3, v54, vcc_lo
	ds_read2_b64 v[21:24], v0 offset0:106 offset1:232
	v_add_co_u32 v57, vcc_lo, v55, s4
	v_add_co_ci_u32_e32 v58, vcc_lo, s3, v56, vcc_lo
	v_add_co_u32 v59, vcc_lo, v57, s4
	v_add_co_ci_u32_e32 v60, vcc_lo, s3, v58, vcc_lo
	;; [unrolled: 2-line block ×8, first 2 shown]
	s_waitcnt vmcnt(11) lgkmcnt(6)
	v_mul_f32_e32 v0, v52, v26
	v_mul_f32_e32 v26, v51, v26
	s_waitcnt vmcnt(10) lgkmcnt(3)
	v_mul_f32_e32 v73, v2, v28
	s_waitcnt vmcnt(9)
	v_mul_f32_e32 v74, v4, v30
	v_mul_f32_e32 v30, v3, v30
	;; [unrolled: 1-line block ×3, first 2 shown]
	v_fmac_f32_e32 v0, v51, v25
	v_fma_f32 v25, v25, v52, -v26
	v_fmac_f32_e32 v73, v1, v27
	v_fma_f32 v4, v29, v4, -v30
	;; [unrolled: 2-line block ×3, first 2 shown]
	v_cvt_f64_f32_e32 v[2:3], v25
	v_cvt_f64_f32_e32 v[25:26], v73
	v_cvt_f64_f32_e32 v[51:52], v4
	s_waitcnt vmcnt(8) lgkmcnt(2)
	v_mul_f32_e32 v4, v10, v32
	v_mul_f32_e32 v32, v9, v32
	s_waitcnt vmcnt(7)
	v_mul_f32_e32 v73, v12, v34
	v_mul_f32_e32 v34, v11, v34
	v_cvt_f64_f32_e32 v[29:30], v74
	s_waitcnt vmcnt(6)
	v_mul_f32_e32 v74, v14, v36
	v_mul_f32_e32 v36, v13, v36
	s_waitcnt vmcnt(5)
	v_mul_f32_e32 v75, v16, v38
	v_mul_f32_e32 v38, v15, v38
	;; [unrolled: 3-line block ×4, first 2 shown]
	s_waitcnt vmcnt(2) lgkmcnt(1)
	v_mul_f32_e32 v78, v6, v46
	v_mul_f32_e32 v46, v5, v46
	s_waitcnt vmcnt(1)
	v_mul_f32_e32 v79, v8, v48
	v_fmac_f32_e32 v4, v9, v31
	v_fma_f32 v9, v31, v10, -v32
	v_mul_f32_e32 v48, v7, v48
	v_fmac_f32_e32 v73, v11, v33
	v_fma_f32 v10, v33, v12, -v34
	v_cvt_f64_f32_e32 v[0:1], v0
	v_fmac_f32_e32 v74, v13, v35
	v_fma_f32 v14, v35, v14, -v36
	v_cvt_f64_f32_e32 v[27:28], v27
	s_waitcnt vmcnt(0) lgkmcnt(0)
	v_mul_f32_e32 v80, v22, v50
	v_mul_f32_e32 v50, v21, v50
	v_fmac_f32_e32 v75, v15, v37
	v_fma_f32 v31, v37, v16, -v38
	v_fmac_f32_e32 v76, v17, v39
	v_fma_f32 v32, v39, v18, -v40
	;; [unrolled: 2-line block ×4, first 2 shown]
	v_fmac_f32_e32 v79, v7, v47
	v_cvt_f64_f32_e32 v[4:5], v4
	v_cvt_f64_f32_e32 v[6:7], v9
	v_fma_f32 v45, v47, v8, -v48
	v_cvt_f64_f32_e32 v[8:9], v73
	v_cvt_f64_f32_e32 v[10:11], v10
	;; [unrolled: 1-line block ×4, first 2 shown]
	v_fmac_f32_e32 v80, v21, v49
	v_fma_f32 v22, v49, v22, -v50
	v_cvt_f64_f32_e32 v[16:17], v75
	v_cvt_f64_f32_e32 v[18:19], v31
	;; [unrolled: 1-line block ×12, first 2 shown]
	v_mul_f64 v[0:1], v[0:1], s[0:1]
	v_mul_f64 v[2:3], v[2:3], s[0:1]
	;; [unrolled: 1-line block ×24, first 2 shown]
	v_cvt_f32_f64_e32 v0, v[0:1]
	v_cvt_f32_f64_e32 v1, v[2:3]
	;; [unrolled: 1-line block ×24, first 2 shown]
	v_add_co_u32 v27, vcc_lo, v71, s4
	v_add_co_ci_u32_e32 v28, vcc_lo, s3, v72, vcc_lo
	v_add_co_u32 v29, vcc_lo, v27, s4
	v_add_co_ci_u32_e32 v30, vcc_lo, s3, v28, vcc_lo
	global_store_dwordx2 v[53:54], v[0:1], off
	global_store_dwordx2 v[55:56], v[2:3], off
	;; [unrolled: 1-line block ×12, first 2 shown]
	global_load_dwordx2 v[0:1], v[43:44], off offset:1856
	s_waitcnt vmcnt(0)
	v_mul_f32_e32 v2, v24, v1
	v_mul_f32_e32 v1, v23, v1
	v_fmac_f32_e32 v2, v23, v0
	v_fma_f32 v3, v0, v24, -v1
	v_cvt_f64_f32_e32 v[0:1], v2
	v_cvt_f64_f32_e32 v[2:3], v3
	v_mul_f64 v[0:1], v[0:1], s[0:1]
	v_mul_f64 v[2:3], v[2:3], s[0:1]
	v_cvt_f32_f64_e32 v0, v[0:1]
	v_cvt_f32_f64_e32 v1, v[2:3]
	v_add_co_u32 v2, vcc_lo, v29, s4
	v_add_co_ci_u32_e32 v3, vcc_lo, s3, v30, vcc_lo
	global_store_dwordx2 v[2:3], v[0:1], off
.LBB0_31:
	s_endpgm
	.section	.rodata,"a",@progbits
	.p2align	6, 0x0
	.amdhsa_kernel bluestein_single_back_len1638_dim1_sp_op_CI_CI
		.amdhsa_group_segment_fixed_size 13104
		.amdhsa_private_segment_fixed_size 0
		.amdhsa_kernarg_size 104
		.amdhsa_user_sgpr_count 6
		.amdhsa_user_sgpr_private_segment_buffer 1
		.amdhsa_user_sgpr_dispatch_ptr 0
		.amdhsa_user_sgpr_queue_ptr 0
		.amdhsa_user_sgpr_kernarg_segment_ptr 1
		.amdhsa_user_sgpr_dispatch_id 0
		.amdhsa_user_sgpr_flat_scratch_init 0
		.amdhsa_user_sgpr_private_segment_size 0
		.amdhsa_wavefront_size32 1
		.amdhsa_uses_dynamic_stack 0
		.amdhsa_system_sgpr_private_segment_wavefront_offset 0
		.amdhsa_system_sgpr_workgroup_id_x 1
		.amdhsa_system_sgpr_workgroup_id_y 0
		.amdhsa_system_sgpr_workgroup_id_z 0
		.amdhsa_system_sgpr_workgroup_info 0
		.amdhsa_system_vgpr_workitem_id 0
		.amdhsa_next_free_vgpr 199
		.amdhsa_next_free_sgpr 16
		.amdhsa_reserve_vcc 1
		.amdhsa_reserve_flat_scratch 0
		.amdhsa_float_round_mode_32 0
		.amdhsa_float_round_mode_16_64 0
		.amdhsa_float_denorm_mode_32 3
		.amdhsa_float_denorm_mode_16_64 3
		.amdhsa_dx10_clamp 1
		.amdhsa_ieee_mode 1
		.amdhsa_fp16_overflow 0
		.amdhsa_workgroup_processor_mode 1
		.amdhsa_memory_ordered 1
		.amdhsa_forward_progress 0
		.amdhsa_shared_vgpr_count 0
		.amdhsa_exception_fp_ieee_invalid_op 0
		.amdhsa_exception_fp_denorm_src 0
		.amdhsa_exception_fp_ieee_div_zero 0
		.amdhsa_exception_fp_ieee_overflow 0
		.amdhsa_exception_fp_ieee_underflow 0
		.amdhsa_exception_fp_ieee_inexact 0
		.amdhsa_exception_int_div_zero 0
	.end_amdhsa_kernel
	.text
.Lfunc_end0:
	.size	bluestein_single_back_len1638_dim1_sp_op_CI_CI, .Lfunc_end0-bluestein_single_back_len1638_dim1_sp_op_CI_CI
                                        ; -- End function
	.section	.AMDGPU.csdata,"",@progbits
; Kernel info:
; codeLenInByte = 16476
; NumSgprs: 18
; NumVgprs: 199
; ScratchSize: 0
; MemoryBound: 0
; FloatMode: 240
; IeeeMode: 1
; LDSByteSize: 13104 bytes/workgroup (compile time only)
; SGPRBlocks: 2
; VGPRBlocks: 24
; NumSGPRsForWavesPerEU: 18
; NumVGPRsForWavesPerEU: 199
; Occupancy: 4
; WaveLimiterHint : 1
; COMPUTE_PGM_RSRC2:SCRATCH_EN: 0
; COMPUTE_PGM_RSRC2:USER_SGPR: 6
; COMPUTE_PGM_RSRC2:TRAP_HANDLER: 0
; COMPUTE_PGM_RSRC2:TGID_X_EN: 1
; COMPUTE_PGM_RSRC2:TGID_Y_EN: 0
; COMPUTE_PGM_RSRC2:TGID_Z_EN: 0
; COMPUTE_PGM_RSRC2:TIDIG_COMP_CNT: 0
	.text
	.p2alignl 6, 3214868480
	.fill 48, 4, 3214868480
	.type	__hip_cuid_bf9a8849f14c5629,@object ; @__hip_cuid_bf9a8849f14c5629
	.section	.bss,"aw",@nobits
	.globl	__hip_cuid_bf9a8849f14c5629
__hip_cuid_bf9a8849f14c5629:
	.byte	0                               ; 0x0
	.size	__hip_cuid_bf9a8849f14c5629, 1

	.ident	"AMD clang version 19.0.0git (https://github.com/RadeonOpenCompute/llvm-project roc-6.4.0 25133 c7fe45cf4b819c5991fe208aaa96edf142730f1d)"
	.section	".note.GNU-stack","",@progbits
	.addrsig
	.addrsig_sym __hip_cuid_bf9a8849f14c5629
	.amdgpu_metadata
---
amdhsa.kernels:
  - .args:
      - .actual_access:  read_only
        .address_space:  global
        .offset:         0
        .size:           8
        .value_kind:     global_buffer
      - .actual_access:  read_only
        .address_space:  global
        .offset:         8
        .size:           8
        .value_kind:     global_buffer
      - .actual_access:  read_only
        .address_space:  global
        .offset:         16
        .size:           8
        .value_kind:     global_buffer
      - .actual_access:  read_only
        .address_space:  global
        .offset:         24
        .size:           8
        .value_kind:     global_buffer
      - .actual_access:  read_only
        .address_space:  global
        .offset:         32
        .size:           8
        .value_kind:     global_buffer
      - .offset:         40
        .size:           8
        .value_kind:     by_value
      - .address_space:  global
        .offset:         48
        .size:           8
        .value_kind:     global_buffer
      - .address_space:  global
        .offset:         56
        .size:           8
        .value_kind:     global_buffer
      - .address_space:  global
        .offset:         64
        .size:           8
        .value_kind:     global_buffer
      - .address_space:  global
        .offset:         72
        .size:           8
        .value_kind:     global_buffer
      - .offset:         80
        .size:           4
        .value_kind:     by_value
      - .address_space:  global
        .offset:         88
        .size:           8
        .value_kind:     global_buffer
      - .address_space:  global
        .offset:         96
        .size:           8
        .value_kind:     global_buffer
    .group_segment_fixed_size: 13104
    .kernarg_segment_align: 8
    .kernarg_segment_size: 104
    .language:       OpenCL C
    .language_version:
      - 2
      - 0
    .max_flat_workgroup_size: 182
    .name:           bluestein_single_back_len1638_dim1_sp_op_CI_CI
    .private_segment_fixed_size: 0
    .sgpr_count:     18
    .sgpr_spill_count: 0
    .symbol:         bluestein_single_back_len1638_dim1_sp_op_CI_CI.kd
    .uniform_work_group_size: 1
    .uses_dynamic_stack: false
    .vgpr_count:     199
    .vgpr_spill_count: 0
    .wavefront_size: 32
    .workgroup_processor_mode: 1
amdhsa.target:   amdgcn-amd-amdhsa--gfx1030
amdhsa.version:
  - 1
  - 2
...

	.end_amdgpu_metadata
